;; amdgpu-corpus repo=ROCm/rocFFT kind=compiled arch=gfx1030 opt=O3
	.text
	.amdgcn_target "amdgcn-amd-amdhsa--gfx1030"
	.amdhsa_code_object_version 6
	.protected	fft_rtc_fwd_len1372_factors_2_2_7_7_7_wgs_196_tpt_98_halfLds_dp_ip_CI_unitstride_sbrr_R2C_dirReg ; -- Begin function fft_rtc_fwd_len1372_factors_2_2_7_7_7_wgs_196_tpt_98_halfLds_dp_ip_CI_unitstride_sbrr_R2C_dirReg
	.globl	fft_rtc_fwd_len1372_factors_2_2_7_7_7_wgs_196_tpt_98_halfLds_dp_ip_CI_unitstride_sbrr_R2C_dirReg
	.p2align	8
	.type	fft_rtc_fwd_len1372_factors_2_2_7_7_7_wgs_196_tpt_98_halfLds_dp_ip_CI_unitstride_sbrr_R2C_dirReg,@function
fft_rtc_fwd_len1372_factors_2_2_7_7_7_wgs_196_tpt_98_halfLds_dp_ip_CI_unitstride_sbrr_R2C_dirReg: ; @fft_rtc_fwd_len1372_factors_2_2_7_7_7_wgs_196_tpt_98_halfLds_dp_ip_CI_unitstride_sbrr_R2C_dirReg
; %bb.0:
	s_clause 0x2
	s_load_dwordx4 s[8:11], s[4:5], 0x0
	s_load_dwordx2 s[2:3], s[4:5], 0x50
	s_load_dwordx2 s[12:13], s[4:5], 0x18
	v_mul_u32_u24_e32 v1, 0x29d, v0
	v_mov_b32_e32 v3, 0
	v_lshrrev_b32_e32 v9, 16, v1
	v_mov_b32_e32 v1, 0
	v_mov_b32_e32 v6, v3
	v_mov_b32_e32 v2, 0
	v_lshl_add_u32 v5, s6, 1, v9
	s_waitcnt lgkmcnt(0)
	v_cmp_lt_u64_e64 s0, s[10:11], 2
	s_and_b32 vcc_lo, exec_lo, s0
	s_cbranch_vccnz .LBB0_8
; %bb.1:
	s_load_dwordx2 s[0:1], s[4:5], 0x10
	v_mov_b32_e32 v1, 0
	s_add_u32 s6, s12, 8
	v_mov_b32_e32 v2, 0
	s_addc_u32 s7, s13, 0
	s_mov_b64 s[16:17], 1
	s_waitcnt lgkmcnt(0)
	s_add_u32 s14, s0, 8
	s_addc_u32 s15, s1, 0
.LBB0_2:                                ; =>This Inner Loop Header: Depth=1
	s_load_dwordx2 s[18:19], s[14:15], 0x0
                                        ; implicit-def: $vgpr7_vgpr8
	s_mov_b32 s0, exec_lo
	s_waitcnt lgkmcnt(0)
	v_or_b32_e32 v4, s19, v6
	v_cmpx_ne_u64_e32 0, v[3:4]
	s_xor_b32 s1, exec_lo, s0
	s_cbranch_execz .LBB0_4
; %bb.3:                                ;   in Loop: Header=BB0_2 Depth=1
	v_cvt_f32_u32_e32 v4, s18
	v_cvt_f32_u32_e32 v7, s19
	s_sub_u32 s0, 0, s18
	s_subb_u32 s20, 0, s19
	v_fmac_f32_e32 v4, 0x4f800000, v7
	v_rcp_f32_e32 v4, v4
	v_mul_f32_e32 v4, 0x5f7ffffc, v4
	v_mul_f32_e32 v7, 0x2f800000, v4
	v_trunc_f32_e32 v7, v7
	v_fmac_f32_e32 v4, 0xcf800000, v7
	v_cvt_u32_f32_e32 v7, v7
	v_cvt_u32_f32_e32 v4, v4
	v_mul_lo_u32 v8, s0, v7
	v_mul_hi_u32 v10, s0, v4
	v_mul_lo_u32 v11, s20, v4
	v_add_nc_u32_e32 v8, v10, v8
	v_mul_lo_u32 v10, s0, v4
	v_add_nc_u32_e32 v8, v8, v11
	v_mul_hi_u32 v11, v4, v10
	v_mul_lo_u32 v12, v4, v8
	v_mul_hi_u32 v13, v4, v8
	v_mul_hi_u32 v14, v7, v10
	v_mul_lo_u32 v10, v7, v10
	v_mul_hi_u32 v15, v7, v8
	v_mul_lo_u32 v8, v7, v8
	v_add_co_u32 v11, vcc_lo, v11, v12
	v_add_co_ci_u32_e32 v12, vcc_lo, 0, v13, vcc_lo
	v_add_co_u32 v10, vcc_lo, v11, v10
	v_add_co_ci_u32_e32 v10, vcc_lo, v12, v14, vcc_lo
	v_add_co_ci_u32_e32 v11, vcc_lo, 0, v15, vcc_lo
	v_add_co_u32 v8, vcc_lo, v10, v8
	v_add_co_ci_u32_e32 v10, vcc_lo, 0, v11, vcc_lo
	v_add_co_u32 v4, vcc_lo, v4, v8
	v_add_co_ci_u32_e32 v7, vcc_lo, v7, v10, vcc_lo
	v_mul_hi_u32 v8, s0, v4
	v_mul_lo_u32 v11, s20, v4
	v_mul_lo_u32 v10, s0, v7
	v_add_nc_u32_e32 v8, v8, v10
	v_mul_lo_u32 v10, s0, v4
	v_add_nc_u32_e32 v8, v8, v11
	v_mul_hi_u32 v11, v4, v10
	v_mul_lo_u32 v12, v4, v8
	v_mul_hi_u32 v13, v4, v8
	v_mul_hi_u32 v14, v7, v10
	v_mul_lo_u32 v10, v7, v10
	v_mul_hi_u32 v15, v7, v8
	v_mul_lo_u32 v8, v7, v8
	v_add_co_u32 v11, vcc_lo, v11, v12
	v_add_co_ci_u32_e32 v12, vcc_lo, 0, v13, vcc_lo
	v_add_co_u32 v10, vcc_lo, v11, v10
	v_add_co_ci_u32_e32 v10, vcc_lo, v12, v14, vcc_lo
	v_add_co_ci_u32_e32 v11, vcc_lo, 0, v15, vcc_lo
	v_add_co_u32 v8, vcc_lo, v10, v8
	v_add_co_ci_u32_e32 v10, vcc_lo, 0, v11, vcc_lo
	v_add_co_u32 v4, vcc_lo, v4, v8
	v_add_co_ci_u32_e32 v12, vcc_lo, v7, v10, vcc_lo
	v_mul_hi_u32 v14, v5, v4
	v_mad_u64_u32 v[10:11], null, v6, v4, 0
	v_mad_u64_u32 v[7:8], null, v5, v12, 0
	;; [unrolled: 1-line block ×3, first 2 shown]
	v_add_co_u32 v4, vcc_lo, v14, v7
	v_add_co_ci_u32_e32 v7, vcc_lo, 0, v8, vcc_lo
	v_add_co_u32 v4, vcc_lo, v4, v10
	v_add_co_ci_u32_e32 v4, vcc_lo, v7, v11, vcc_lo
	v_add_co_ci_u32_e32 v7, vcc_lo, 0, v13, vcc_lo
	v_add_co_u32 v4, vcc_lo, v4, v12
	v_add_co_ci_u32_e32 v10, vcc_lo, 0, v7, vcc_lo
	v_mul_lo_u32 v11, s19, v4
	v_mad_u64_u32 v[7:8], null, s18, v4, 0
	v_mul_lo_u32 v12, s18, v10
	v_sub_co_u32 v7, vcc_lo, v5, v7
	v_add3_u32 v8, v8, v12, v11
	v_sub_nc_u32_e32 v11, v6, v8
	v_subrev_co_ci_u32_e64 v11, s0, s19, v11, vcc_lo
	v_add_co_u32 v12, s0, v4, 2
	v_add_co_ci_u32_e64 v13, s0, 0, v10, s0
	v_sub_co_u32 v14, s0, v7, s18
	v_sub_co_ci_u32_e32 v8, vcc_lo, v6, v8, vcc_lo
	v_subrev_co_ci_u32_e64 v11, s0, 0, v11, s0
	v_cmp_le_u32_e32 vcc_lo, s18, v14
	v_cmp_eq_u32_e64 s0, s19, v8
	v_cndmask_b32_e64 v14, 0, -1, vcc_lo
	v_cmp_le_u32_e32 vcc_lo, s19, v11
	v_cndmask_b32_e64 v15, 0, -1, vcc_lo
	v_cmp_le_u32_e32 vcc_lo, s18, v7
	;; [unrolled: 2-line block ×3, first 2 shown]
	v_cndmask_b32_e64 v16, 0, -1, vcc_lo
	v_cmp_eq_u32_e32 vcc_lo, s19, v11
	v_cndmask_b32_e64 v7, v16, v7, s0
	v_cndmask_b32_e32 v11, v15, v14, vcc_lo
	v_add_co_u32 v14, vcc_lo, v4, 1
	v_add_co_ci_u32_e32 v15, vcc_lo, 0, v10, vcc_lo
	v_cmp_ne_u32_e32 vcc_lo, 0, v11
	v_cndmask_b32_e32 v8, v15, v13, vcc_lo
	v_cndmask_b32_e32 v11, v14, v12, vcc_lo
	v_cmp_ne_u32_e32 vcc_lo, 0, v7
	v_cndmask_b32_e32 v8, v10, v8, vcc_lo
	v_cndmask_b32_e32 v7, v4, v11, vcc_lo
.LBB0_4:                                ;   in Loop: Header=BB0_2 Depth=1
	s_andn2_saveexec_b32 s0, s1
	s_cbranch_execz .LBB0_6
; %bb.5:                                ;   in Loop: Header=BB0_2 Depth=1
	v_cvt_f32_u32_e32 v4, s18
	s_sub_i32 s1, 0, s18
	v_rcp_iflag_f32_e32 v4, v4
	v_mul_f32_e32 v4, 0x4f7ffffe, v4
	v_cvt_u32_f32_e32 v4, v4
	v_mul_lo_u32 v7, s1, v4
	v_mul_hi_u32 v7, v4, v7
	v_add_nc_u32_e32 v4, v4, v7
	v_mul_hi_u32 v4, v5, v4
	v_mul_lo_u32 v7, v4, s18
	v_add_nc_u32_e32 v8, 1, v4
	v_sub_nc_u32_e32 v7, v5, v7
	v_subrev_nc_u32_e32 v10, s18, v7
	v_cmp_le_u32_e32 vcc_lo, s18, v7
	v_cndmask_b32_e32 v7, v7, v10, vcc_lo
	v_cndmask_b32_e32 v4, v4, v8, vcc_lo
	v_cmp_le_u32_e32 vcc_lo, s18, v7
	v_add_nc_u32_e32 v8, 1, v4
	v_cndmask_b32_e32 v7, v4, v8, vcc_lo
	v_mov_b32_e32 v8, v3
.LBB0_6:                                ;   in Loop: Header=BB0_2 Depth=1
	s_or_b32 exec_lo, exec_lo, s0
	s_load_dwordx2 s[0:1], s[6:7], 0x0
	v_mul_lo_u32 v4, v8, s18
	v_mul_lo_u32 v12, v7, s19
	v_mad_u64_u32 v[10:11], null, v7, s18, 0
	s_add_u32 s16, s16, 1
	s_addc_u32 s17, s17, 0
	s_add_u32 s6, s6, 8
	s_addc_u32 s7, s7, 0
	;; [unrolled: 2-line block ×3, first 2 shown]
	v_add3_u32 v4, v11, v12, v4
	v_sub_co_u32 v5, vcc_lo, v5, v10
	v_sub_co_ci_u32_e32 v4, vcc_lo, v6, v4, vcc_lo
	s_waitcnt lgkmcnt(0)
	v_mul_lo_u32 v6, s1, v5
	v_mul_lo_u32 v4, s0, v4
	v_mad_u64_u32 v[1:2], null, s0, v5, v[1:2]
	v_cmp_ge_u64_e64 s0, s[16:17], s[10:11]
	s_and_b32 vcc_lo, exec_lo, s0
	v_add3_u32 v2, v6, v2, v4
	s_cbranch_vccnz .LBB0_9
; %bb.7:                                ;   in Loop: Header=BB0_2 Depth=1
	v_mov_b32_e32 v5, v7
	v_mov_b32_e32 v6, v8
	s_branch .LBB0_2
.LBB0_8:
	v_mov_b32_e32 v8, v6
	v_mov_b32_e32 v7, v5
.LBB0_9:
	s_lshl_b64 s[0:1], s[10:11], 3
	v_mul_hi_u32 v3, 0x29cbc15, v0
	s_add_u32 s0, s12, s0
	s_addc_u32 s1, s13, s1
	s_load_dwordx2 s[4:5], s[4:5], 0x20
	s_load_dwordx2 s[6:7], s[0:1], 0x0
	v_and_b32_e32 v4, 1, v9
	v_mul_u32_u24_e32 v3, 0x62, v3
	v_cmp_eq_u32_e64 s0, 1, v4
	v_sub_nc_u32_e32 v32, v0, v3
	v_add_nc_u32_e32 v34, 0x62, v32
	v_add_nc_u32_e32 v46, 0xc4, v32
	;; [unrolled: 1-line block ×5, first 2 shown]
	s_waitcnt lgkmcnt(0)
	v_cmp_gt_u64_e32 vcc_lo, s[4:5], v[7:8]
	v_mul_lo_u32 v3, s6, v8
	v_mul_lo_u32 v4, s7, v7
	v_mad_u64_u32 v[0:1], null, s6, v7, v[1:2]
	v_cmp_le_u64_e64 s1, s[4:5], v[7:8]
	v_add_nc_u32_e32 v38, 0x24c, v32
	v_add3_u32 v1, v4, v1, v3
	s_and_saveexec_b32 s4, s1
	s_xor_b32 s1, exec_lo, s4
; %bb.10:
	v_add_nc_u32_e32 v34, 0x62, v32
	v_add_nc_u32_e32 v46, 0xc4, v32
	;; [unrolled: 1-line block ×6, first 2 shown]
; %bb.11:
	s_or_saveexec_b32 s1, s1
	v_cndmask_b32_e64 v2, 0, 0x55d, s0
	v_lshlrev_b64 v[36:37], 4, v[0:1]
	v_lshlrev_b32_e32 v35, 4, v32
	v_lshlrev_b32_e32 v41, 4, v2
	s_xor_b32 exec_lo, exec_lo, s1
	s_cbranch_execz .LBB0_13
; %bb.12:
	v_mov_b32_e32 v33, 0
	v_add_co_u32 v2, s0, s2, v36
	v_add_co_ci_u32_e64 v3, s0, s3, v37, s0
	v_lshlrev_b64 v[0:1], 4, v[32:33]
	v_add3_u32 v33, 0, v41, v35
	v_add_co_u32 v8, s0, v2, v0
	v_add_co_ci_u32_e64 v9, s0, v3, v1, s0
	s_clause 0x1
	global_load_dwordx4 v[0:3], v[8:9], off
	global_load_dwordx4 v[4:7], v[8:9], off offset:1568
	v_add_co_u32 v10, s0, 0x800, v8
	v_add_co_ci_u32_e64 v11, s0, 0, v9, s0
	v_add_co_u32 v12, s0, 0x1000, v8
	v_add_co_ci_u32_e64 v13, s0, 0, v9, s0
	v_add_co_u32 v20, s0, 0x1800, v8
	v_add_co_ci_u32_e64 v21, s0, 0, v9, s0
	v_add_co_u32 v24, s0, 0x2000, v8
	v_add_co_ci_u32_e64 v25, s0, 0, v9, s0
	v_add_co_u32 v28, s0, 0x2800, v8
	v_add_co_ci_u32_e64 v29, s0, 0, v9, s0
	v_add_co_u32 v51, s0, 0x3000, v8
	v_add_co_ci_u32_e64 v52, s0, 0, v9, s0
	v_add_co_u32 v55, s0, 0x3800, v8
	v_add_co_ci_u32_e64 v56, s0, 0, v9, s0
	v_add_co_u32 v59, s0, 0x4000, v8
	v_add_co_ci_u32_e64 v60, s0, 0, v9, s0
	v_add_co_u32 v67, s0, 0x4800, v8
	v_add_co_ci_u32_e64 v68, s0, 0, v9, s0
	s_clause 0xb
	global_load_dwordx4 v[8:11], v[10:11], off offset:1088
	global_load_dwordx4 v[12:15], v[12:13], off offset:608
	;; [unrolled: 1-line block ×12, first 2 shown]
	s_waitcnt vmcnt(13)
	ds_write_b128 v33, v[0:3]
	s_waitcnt vmcnt(12)
	ds_write_b128 v33, v[4:7] offset:1568
	s_waitcnt vmcnt(11)
	ds_write_b128 v33, v[8:11] offset:3136
	;; [unrolled: 2-line block ×13, first 2 shown]
.LBB0_13:
	s_or_b32 exec_lo, exec_lo, s1
	v_add_nc_u32_e32 v49, 0, v41
	v_add3_u32 v33, 0, v35, v41
	s_waitcnt lgkmcnt(0)
	s_barrier
	buffer_gl0_inv
	v_add_nc_u32_e32 v48, v49, v35
	ds_read_b128 v[0:3], v33 offset:14112
	ds_read_b128 v[4:7], v33 offset:3136
	;; [unrolled: 1-line block ×9, first 2 shown]
	ds_read_b128 v[54:57], v48
	ds_read_b128 v[58:61], v33 offset:7840
	ds_read_b128 v[62:65], v33 offset:18816
	;; [unrolled: 1-line block ×4, first 2 shown]
	v_add_nc_u32_e32 v39, v33, v35
	v_lshl_add_u32 v43, v34, 5, v49
	v_lshl_add_u32 v45, v46, 5, v49
	;; [unrolled: 1-line block ×6, first 2 shown]
	s_waitcnt lgkmcnt(12)
	v_add_f64 v[74:75], v[4:5], -v[0:1]
	v_add_f64 v[76:77], v[6:7], -v[2:3]
	s_waitcnt lgkmcnt(10)
	v_add_f64 v[12:13], v[8:9], -v[12:13]
	v_add_f64 v[14:15], v[10:11], -v[14:15]
	;; [unrolled: 3-line block ×3, first 2 shown]
	v_and_b32_e32 v0, 1, v32
	s_waitcnt lgkmcnt(5)
	v_add_f64 v[28:29], v[50:51], -v[28:29]
	s_waitcnt lgkmcnt(4)
	v_add_f64 v[24:25], v[54:55], -v[24:25]
	v_add_f64 v[26:27], v[56:57], -v[26:27]
	;; [unrolled: 1-line block ×3, first 2 shown]
	s_waitcnt lgkmcnt(2)
	v_add_f64 v[62:63], v[58:59], -v[62:63]
	v_add_f64 v[64:65], v[60:61], -v[64:65]
	s_waitcnt lgkmcnt(0)
	v_add_f64 v[70:71], v[66:67], -v[70:71]
	v_add_f64 v[72:73], v[68:69], -v[72:73]
	s_barrier
	buffer_gl0_inv
	v_lshlrev_b32_e32 v99, 1, v32
	v_lshlrev_b32_e32 v100, 1, v34
	;; [unrolled: 1-line block ×3, first 2 shown]
	s_mov_b32 s14, 0xe976ee23
	v_fma_f64 v[1:2], v[4:5], 2.0, -v[74:75]
	v_fma_f64 v[3:4], v[6:7], 2.0, -v[76:77]
	;; [unrolled: 1-line block ×6, first 2 shown]
	v_lshlrev_b32_e32 v9, 4, v0
	v_fma_f64 v[50:51], v[50:51], 2.0, -v[28:29]
	v_fma_f64 v[54:55], v[54:55], 2.0, -v[24:25]
	;; [unrolled: 1-line block ×8, first 2 shown]
	s_mov_b32 s6, 0x429ad128
	s_mov_b32 s15, 0xbfe11646
	;; [unrolled: 1-line block ×7, first 2 shown]
	ds_write_b128 v39, v[24:27] offset:16
	ds_write_b128 v43, v[28:31] offset:16
	;; [unrolled: 1-line block ×7, first 2 shown]
	ds_write_b128 v39, v[54:57]
	ds_write_b128 v43, v[50:53]
	;; [unrolled: 1-line block ×7, first 2 shown]
	s_waitcnt lgkmcnt(0)
	s_barrier
	buffer_gl0_inv
	global_load_dwordx4 v[1:4], v9, s[8:9]
	ds_read_b128 v[5:8], v33 offset:10976
	ds_read_b128 v[9:12], v33 offset:12544
	;; [unrolled: 1-line block ×7, first 2 shown]
	ds_read_b128 v[56:59], v48
	v_lshlrev_b32_e32 v31, 4, v34
	v_lshlrev_b32_e32 v50, 4, v46
	;; [unrolled: 1-line block ×6, first 2 shown]
	v_sub_nc_u32_e32 v39, v43, v31
	v_sub_nc_u32_e32 v50, v45, v50
	;; [unrolled: 1-line block ×6, first 2 shown]
	ds_read_b128 v[60:63], v39
	ds_read_b128 v[64:67], v50
	v_lshlrev_b32_e32 v31, 1, v44
	s_mov_b32 s17, 0x3fe948f6
	s_mov_b32 s5, 0x3fd5d0dc
	;; [unrolled: 1-line block ×4, first 2 shown]
	v_and_or_b32 v31, 0x3fc, v31, v0
	s_mov_b32 s20, 0x5476071b
	s_mov_b32 s21, 0x3fe77f67
	;; [unrolled: 1-line block ×8, first 2 shown]
	v_mov_b32_e32 v106, 6
	s_add_u32 s1, s8, 0x55a0
	s_waitcnt vmcnt(0) lgkmcnt(9)
	v_mul_f64 v[29:30], v[7:8], v[3:4]
	v_mul_f64 v[68:69], v[5:6], v[3:4]
	s_waitcnt lgkmcnt(8)
	v_mul_f64 v[72:73], v[11:12], v[3:4]
	v_mul_f64 v[74:75], v[9:10], v[3:4]
	s_waitcnt lgkmcnt(7)
	;; [unrolled: 3-line block ×6, first 2 shown]
	v_mul_f64 v[92:93], v[54:55], v[3:4]
	v_mul_f64 v[94:95], v[52:53], v[3:4]
	v_fma_f64 v[29:30], v[5:6], v[1:2], -v[29:30]
	v_fma_f64 v[96:97], v[7:8], v[1:2], v[68:69]
	v_fma_f64 v[72:73], v[9:10], v[1:2], -v[72:73]
	v_fma_f64 v[74:75], v[11:12], v[1:2], v[74:75]
	;; [unrolled: 2-line block ×5, first 2 shown]
	ds_read_b128 v[3:6], v47
	ds_read_b128 v[68:71], v51
	v_fma_f64 v[88:89], v[25:26], v[1:2], -v[88:89]
	v_fma_f64 v[90:91], v[27:28], v[1:2], v[90:91]
	v_fma_f64 v[92:93], v[52:53], v[1:2], -v[92:93]
	ds_read_b128 v[7:10], v45
	ds_read_b128 v[11:14], v43
	v_fma_f64 v[1:2], v[54:55], v[1:2], v[94:95]
	v_lshlrev_b32_e32 v53, 1, v42
	v_lshlrev_b32_e32 v54, 1, v40
	v_lshlrev_b32_e32 v55, 1, v38
	v_and_or_b32 v94, 0xfc, v99, v0
	v_and_or_b32 v95, 0x1fc, v100, v0
	s_waitcnt lgkmcnt(6)
	v_add_f64 v[15:16], v[56:57], -v[29:30]
	v_add_f64 v[17:18], v[58:59], -v[96:97]
	s_waitcnt lgkmcnt(5)
	v_add_f64 v[19:20], v[60:61], -v[72:73]
	v_add_f64 v[21:22], v[62:63], -v[74:75]
	;; [unrolled: 3-line block ×3, first 2 shown]
	v_and_b32_e32 v52, 3, v32
	s_waitcnt lgkmcnt(3)
	v_add_f64 v[27:28], v[3:4], -v[80:81]
	v_add_f64 v[29:30], v[5:6], -v[82:83]
	s_waitcnt lgkmcnt(2)
	v_add_f64 v[72:73], v[68:69], -v[84:85]
	v_add_f64 v[74:75], v[70:71], -v[86:87]
	v_and_or_b32 v85, 0x7fc, v53, v0
	s_waitcnt lgkmcnt(1)
	v_add_f64 v[76:77], v[7:8], -v[88:89]
	v_add_f64 v[78:79], v[9:10], -v[90:91]
	s_waitcnt lgkmcnt(0)
	v_add_f64 v[80:81], v[11:12], -v[92:93]
	v_and_or_b32 v86, 0x7fc, v54, v0
	v_add_f64 v[82:83], v[13:14], -v[1:2]
	v_and_or_b32 v87, 0x5fc, v55, v0
	v_and_or_b32 v84, 0x3fc, v101, v0
	v_mul_u32_u24_e32 v88, 6, v52
	v_lshl_add_u32 v89, v94, 4, v49
	v_lshl_add_u32 v90, v95, 4, v49
	v_fma_f64 v[53:54], v[56:57], 2.0, -v[15:16]
	v_fma_f64 v[55:56], v[58:59], 2.0, -v[17:18]
	;; [unrolled: 1-line block ×10, first 2 shown]
	v_lshlrev_b32_e32 v70, 4, v88
	v_fma_f64 v[4:5], v[7:8], 2.0, -v[76:77]
	v_fma_f64 v[6:7], v[9:10], 2.0, -v[78:79]
	;; [unrolled: 1-line block ×3, first 2 shown]
	v_lshl_add_u32 v12, v84, 4, v49
	v_fma_f64 v[10:11], v[13:14], 2.0, -v[82:83]
	v_lshl_add_u32 v13, v31, 4, v49
	v_lshl_add_u32 v14, v85, 4, v49
	;; [unrolled: 1-line block ×4, first 2 shown]
	s_barrier
	buffer_gl0_inv
	ds_write_b128 v89, v[15:18] offset:32
	ds_write_b128 v89, v[53:56]
	ds_write_b128 v90, v[57:60]
	ds_write_b128 v90, v[19:22] offset:32
	ds_write_b128 v12, v[61:64]
	ds_write_b128 v12, v[23:26] offset:32
	;; [unrolled: 2-line block ×6, first 2 shown]
	s_waitcnt lgkmcnt(0)
	s_barrier
	buffer_gl0_inv
	s_clause 0x4
	global_load_dwordx4 v[8:11], v70, s[8:9] offset:32
	global_load_dwordx4 v[4:7], v70, s[8:9] offset:48
	;; [unrolled: 1-line block ×5, first 2 shown]
	v_and_b32_e32 v53, 3, v34
	v_mul_u32_u24_e32 v20, 6, v53
	v_lshlrev_b32_e32 v66, 4, v20
	s_clause 0x6
	global_load_dwordx4 v[20:23], v66, s[8:9] offset:32
	global_load_dwordx4 v[24:27], v66, s[8:9] offset:48
	global_load_dwordx4 v[28:31], v66, s[8:9] offset:96
	global_load_dwordx4 v[54:57], v66, s[8:9] offset:112
	global_load_dwordx4 v[58:61], v70, s[8:9] offset:80
	global_load_dwordx4 v[62:65], v66, s[8:9] offset:64
	global_load_dwordx4 v[66:69], v66, s[8:9] offset:80
	ds_read_b128 v[70:73], v50
	ds_read_b128 v[74:77], v39
	;; [unrolled: 1-line block ×6, first 2 shown]
	s_waitcnt vmcnt(11) lgkmcnt(5)
	v_mul_f64 v[94:95], v[72:73], v[10:11]
	v_mul_f64 v[10:11], v[70:71], v[10:11]
	s_waitcnt vmcnt(10) lgkmcnt(3)
	v_mul_f64 v[96:97], v[80:81], v[6:7]
	v_mul_f64 v[98:99], v[78:79], v[6:7]
	v_fma_f64 v[94:95], v[70:71], v[8:9], -v[94:95]
	s_waitcnt vmcnt(9) lgkmcnt(2)
	v_mul_f64 v[70:71], v[82:83], v[2:3]
	v_fma_f64 v[100:101], v[72:73], v[8:9], v[10:11]
	v_mul_f64 v[10:11], v[84:85], v[2:3]
	ds_read_b128 v[6:9], v33 offset:15680
	v_fma_f64 v[96:97], v[78:79], v[4:5], -v[96:97]
	v_fma_f64 v[98:99], v[80:81], v[4:5], v[98:99]
	ds_read_b128 v[2:5], v33 offset:17248
	v_fma_f64 v[84:85], v[84:85], v[0:1], v[70:71]
	ds_read_b128 v[70:73], v33 offset:18816
	ds_read_b128 v[78:81], v33 offset:20384
	s_waitcnt vmcnt(8) lgkmcnt(3)
	v_mul_f64 v[102:103], v[8:9], v[14:15]
	v_mul_f64 v[14:15], v[6:7], v[14:15]
	v_fma_f64 v[82:83], v[82:83], v[0:1], -v[10:11]
	s_waitcnt vmcnt(6)
	v_mul_f64 v[10:11], v[86:87], v[22:23]
	s_waitcnt lgkmcnt(1)
	v_mul_f64 v[0:1], v[72:73], v[18:19]
	v_fma_f64 v[102:103], v[6:7], v[12:13], -v[102:103]
	v_mul_f64 v[6:7], v[70:71], v[18:19]
	v_fma_f64 v[104:105], v[8:9], v[12:13], v[14:15]
	v_mul_f64 v[8:9], v[88:89], v[22:23]
	s_waitcnt vmcnt(5)
	v_mul_f64 v[12:13], v[90:91], v[26:27]
	v_fma_f64 v[18:19], v[70:71], v[16:17], -v[0:1]
	v_mul_f64 v[0:1], v[92:93], v[26:27]
	s_waitcnt vmcnt(4)
	v_mul_f64 v[26:27], v[4:5], v[30:31]
	v_mul_f64 v[30:31], v[2:3], v[30:31]
	v_fma_f64 v[22:23], v[72:73], v[16:17], v[6:7]
	s_waitcnt vmcnt(3) lgkmcnt(0)
	v_mul_f64 v[72:73], v[80:81], v[56:57]
	v_mul_f64 v[56:57], v[78:79], v[56:57]
	v_fma_f64 v[70:71], v[86:87], v[20:21], -v[8:9]
	v_fma_f64 v[20:21], v[88:89], v[20:21], v[10:11]
	ds_read_b128 v[6:9], v33 offset:12544
	v_fma_f64 v[86:87], v[90:91], v[24:25], -v[0:1]
	v_fma_f64 v[24:25], v[92:93], v[24:25], v[12:13]
	ds_read_b128 v[10:13], v33 offset:10976
	ds_read_b128 v[14:17], v33 offset:14112
	v_fma_f64 v[26:27], v[2:3], v[28:29], -v[26:27]
	v_fma_f64 v[4:5], v[4:5], v[28:29], v[30:31]
	v_add_f64 v[90:91], v[96:97], -v[102:103]
	ds_read_b128 v[0:3], v48
	s_waitcnt vmcnt(2) lgkmcnt(3)
	v_mul_f64 v[28:29], v[8:9], v[60:61]
	v_mul_f64 v[30:31], v[6:7], v[60:61]
	v_fma_f64 v[60:61], v[78:79], v[54:55], -v[72:73]
	v_fma_f64 v[54:55], v[80:81], v[54:55], v[56:57]
	s_waitcnt vmcnt(0) lgkmcnt(0)
	s_barrier
	buffer_gl0_inv
	v_mul_f64 v[56:57], v[12:13], v[64:65]
	v_mul_f64 v[64:65], v[10:11], v[64:65]
	v_mul_f64 v[72:73], v[16:17], v[68:69]
	v_mul_f64 v[68:69], v[14:15], v[68:69]
	v_fma_f64 v[6:7], v[6:7], v[58:59], -v[28:29]
	v_fma_f64 v[8:9], v[8:9], v[58:59], v[30:31]
	v_add_f64 v[28:29], v[94:95], v[18:19]
	v_add_f64 v[30:31], v[96:97], v[102:103]
	;; [unrolled: 1-line block ×3, first 2 shown]
	v_add_f64 v[18:19], v[94:95], -v[18:19]
	v_fma_f64 v[10:11], v[10:11], v[62:63], -v[56:57]
	v_fma_f64 v[12:13], v[12:13], v[62:63], v[64:65]
	v_fma_f64 v[14:15], v[14:15], v[66:67], -v[72:73]
	v_fma_f64 v[16:17], v[16:17], v[66:67], v[68:69]
	v_add_f64 v[56:57], v[100:101], v[22:23]
	v_add_f64 v[62:63], v[70:71], v[60:61]
	;; [unrolled: 1-line block ×7, first 2 shown]
	v_add_f64 v[6:7], v[6:7], -v[82:83]
	v_add_f64 v[82:83], v[98:99], -v[104:105]
	v_add_f64 v[92:93], v[30:31], v[28:29]
	v_add_f64 v[26:27], v[86:87], -v[26:27]
	v_add_f64 v[24:25], v[24:25], -v[4:5]
	;; [unrolled: 1-line block ×3, first 2 shown]
	v_lshrrev_b16 v104, 2, v32
	v_add_f64 v[80:81], v[10:11], v[14:15]
	v_add_f64 v[88:89], v[12:13], v[16:17]
	;; [unrolled: 1-line block ×3, first 2 shown]
	v_add_f64 v[10:11], v[14:15], -v[10:11]
	v_add_f64 v[96:97], v[64:65], v[62:63]
	v_add_f64 v[12:13], v[16:17], -v[12:13]
	v_add_f64 v[98:99], v[68:69], v[66:67]
	v_add_f64 v[14:15], v[100:101], -v[22:23]
	v_add_f64 v[22:23], v[70:71], -v[60:61]
	;; [unrolled: 1-line block ×4, first 2 shown]
	v_add_f64 v[60:61], v[72:73], v[92:93]
	v_add_f64 v[92:93], v[6:7], -v[90:91]
	v_add_f64 v[30:31], v[72:73], -v[30:31]
	;; [unrolled: 1-line block ×10, first 2 shown]
	v_add_f64 v[70:71], v[78:79], v[94:95]
	v_add_f64 v[94:95], v[90:91], -v[18:19]
	v_add_f64 v[84:85], v[80:81], v[96:97]
	v_add_f64 v[90:91], v[6:7], v[90:91]
	;; [unrolled: 1-line block ×4, first 2 shown]
	v_add_f64 v[80:81], v[68:69], -v[66:67]
	v_add_f64 v[68:69], v[88:89], -v[68:69]
	;; [unrolled: 1-line block ×3, first 2 shown]
	v_add_f64 v[88:89], v[12:13], v[24:25]
	v_add_f64 v[96:97], v[8:9], v[82:83]
	v_add_f64 v[98:99], v[8:9], -v[82:83]
	v_add_f64 v[82:83], v[82:83], -v[14:15]
	v_add_f64 v[0:1], v[0:1], v[60:61]
	v_mul_f64 v[28:29], v[28:29], s[16:17]
	v_mul_f64 v[56:57], v[56:57], s[16:17]
	v_add_f64 v[8:9], v[14:15], -v[8:9]
	v_mul_f64 v[62:63], v[62:63], s[16:17]
	v_add_f64 v[2:3], v[2:3], v[70:71]
	v_add_f64 v[4:5], v[74:75], v[84:85]
	v_add_f64 v[74:75], v[10:11], -v[26:27]
	v_add_f64 v[6:7], v[76:77], v[86:87]
	v_mul_f64 v[76:77], v[92:93], s[14:15]
	v_mul_f64 v[92:93], v[94:95], s[6:7]
	v_add_f64 v[26:27], v[26:27], -v[22:23]
	v_add_f64 v[10:11], v[22:23], -v[10:11]
	v_add_f64 v[18:19], v[90:91], v[18:19]
	v_add_f64 v[90:91], v[12:13], -v[24:25]
	v_add_f64 v[24:25], v[24:25], -v[16:17]
	v_add_f64 v[22:23], v[78:79], v[22:23]
	v_mul_f64 v[78:79], v[30:31], s[10:11]
	v_add_f64 v[12:13], v[16:17], -v[12:13]
	v_add_f64 v[16:17], v[88:89], v[16:17]
	v_mul_f64 v[88:89], v[58:59], s[10:11]
	v_add_f64 v[14:15], v[96:97], v[14:15]
	v_mul_f64 v[96:97], v[98:99], s[14:15]
	v_mul_f64 v[98:99], v[82:83], s[6:7]
	;; [unrolled: 1-line block ×3, first 2 shown]
	v_fma_f64 v[60:61], v[60:61], s[24:25], v[0:1]
	v_fma_f64 v[70:71], v[70:71], s[24:25], v[2:3]
	;; [unrolled: 1-line block ×3, first 2 shown]
	v_mul_f64 v[74:75], v[74:75], s[14:15]
	v_fma_f64 v[86:87], v[86:87], s[24:25], v[6:7]
	v_fma_f64 v[94:95], v[94:95], s[6:7], -v[76:77]
	v_fma_f64 v[92:93], v[100:101], s[12:13], -v[92:93]
	v_fma_f64 v[76:77], v[100:101], s[4:5], v[76:77]
	v_mul_f64 v[100:101], v[26:27], s[6:7]
	v_mul_f64 v[90:91], v[90:91], s[14:15]
	;; [unrolled: 1-line block ×3, first 2 shown]
	v_fma_f64 v[78:79], v[20:21], s[20:21], -v[78:79]
	v_fma_f64 v[20:21], v[20:21], s[18:19], -v[28:29]
	v_fma_f64 v[28:29], v[30:31], s[10:11], v[28:29]
	v_fma_f64 v[30:31], v[54:55], s[20:21], -v[88:89]
	v_fma_f64 v[54:55], v[54:55], s[18:19], -v[56:57]
	v_fma_f64 v[56:57], v[58:59], s[10:11], v[56:57]
	v_mul_f64 v[58:59], v[64:65], s[10:11]
	v_fma_f64 v[82:83], v[82:83], s[6:7], -v[96:97]
	v_fma_f64 v[96:97], v[8:9], s[4:5], v[96:97]
	v_fma_f64 v[98:99], v[8:9], s[12:13], -v[98:99]
	v_and_b32_e32 v9, 63, v104
	v_lshrrev_b32_e32 v8, 2, v32
	v_fma_f64 v[26:27], v[26:27], s[6:7], -v[74:75]
	v_lshrrev_b32_e32 v104, 2, v34
	v_mul_lo_u16 v9, v9, 37
	v_mul_u32_u24_e32 v8, 28, v8
	v_fma_f64 v[88:89], v[10:11], s[12:13], -v[100:101]
	v_fma_f64 v[10:11], v[10:11], s[4:5], v[74:75]
	v_mul_f64 v[74:75], v[68:69], s[10:11]
	v_fma_f64 v[24:25], v[24:25], s[6:7], -v[90:91]
	v_fma_f64 v[100:101], v[12:13], s[12:13], -v[102:103]
	v_fma_f64 v[12:13], v[12:13], s[4:5], v[90:91]
	v_lshrrev_b16 v9, 8, v9
	v_or_b32_e32 v108, v8, v52
	v_fma_f64 v[76:77], v[18:19], s[22:23], v[76:77]
	v_add_f64 v[78:79], v[78:79], v[60:61]
	v_add_f64 v[56:57], v[56:57], v[70:71]
	v_fma_f64 v[58:59], v[72:73], s[20:21], -v[58:59]
	v_fma_f64 v[72:73], v[72:73], s[18:19], -v[62:63]
	v_fma_f64 v[62:63], v[64:65], s[10:11], v[62:63]
	v_fma_f64 v[64:65], v[80:81], s[18:19], -v[66:67]
	v_fma_f64 v[66:67], v[68:69], s[10:11], v[66:67]
	v_mul_lo_u16 v90, v9, 28
	v_fma_f64 v[68:69], v[18:19], s[22:23], v[94:95]
	v_add_f64 v[54:55], v[54:55], v[70:71]
	v_add_f64 v[30:31], v[30:31], v[70:71]
	v_mul_lo_u32 v107, v104, 28
	v_sub_nc_u16 v8, v32, v90
	v_fma_f64 v[90:91], v[14:15], s[22:23], v[96:97]
	v_fma_f64 v[88:89], v[22:23], s[22:23], v[88:89]
	v_fma_f64 v[74:75], v[80:81], s[20:21], -v[74:75]
	v_fma_f64 v[80:81], v[18:19], s[22:23], v[92:93]
	v_add_f64 v[92:93], v[20:21], v[60:61]
	v_add_f64 v[60:61], v[28:29], v[60:61]
	v_fma_f64 v[18:19], v[14:15], s[22:23], v[82:83]
	v_fma_f64 v[82:83], v[14:15], s[22:23], v[98:99]
	;; [unrolled: 1-line block ×5, first 2 shown]
	v_add_f64 v[70:71], v[58:59], v[84:85]
	v_fma_f64 v[102:103], v[16:17], s[22:23], v[12:13]
	v_add_f64 v[72:73], v[72:73], v[84:85]
	v_add_f64 v[84:85], v[62:63], v[84:85]
	;; [unrolled: 1-line block ×3, first 2 shown]
	v_fma_f64 v[94:95], v[22:23], s[22:23], v[26:27]
	v_add_f64 v[28:29], v[56:57], -v[76:77]
	v_or_b32_e32 v107, v107, v53
	v_add_f64 v[12:13], v[68:69], v[30:31]
	v_add_f64 v[16:17], v[30:31], -v[68:69]
	v_mul_u32_u24_sdwa v109, v8, v106 dst_sel:DWORD dst_unused:UNUSED_PAD src0_sel:BYTE_0 src1_sel:DWORD
	v_lshl_add_u32 v30, v108, 4, v49
	v_lshl_add_u32 v31, v107, 4, v49
	v_add_f64 v[74:75], v[74:75], v[86:87]
	v_add_f64 v[86:87], v[64:65], v[86:87]
	v_add_f64 v[20:21], v[54:55], -v[80:81]
	v_add_f64 v[26:27], v[90:91], v[60:61]
	v_add_f64 v[10:11], v[78:79], -v[18:19]
	v_add_f64 v[14:15], v[18:19], v[78:79]
	v_add_f64 v[18:19], v[82:83], v[92:93]
	v_add_f64 v[22:23], v[92:93], -v[82:83]
	v_add_f64 v[24:25], v[80:81], v[54:55]
	v_add_f64 v[52:53], v[60:61], -v[90:91]
	;; [unrolled: 2-line block ×3, first 2 shown]
	v_add_f64 v[60:61], v[96:97], v[70:71]
	v_add_f64 v[68:69], v[102:103], v[84:85]
	v_add_f64 v[70:71], v[104:105], -v[100:101]
	v_add_f64 v[64:65], v[98:99], v[72:73]
	v_add_f64 v[72:73], v[72:73], -v[98:99]
	v_add_f64 v[76:77], v[84:85], -v[102:103]
	v_add_f64 v[78:79], v[100:101], v[104:105]
	v_lshlrev_b32_e32 v80, 4, v109
	v_and_b32_e32 v9, 0xffff, v9
	v_add_f64 v[58:59], v[94:95], v[74:75]
	v_add_f64 v[66:67], v[86:87], -v[88:89]
	v_add_f64 v[62:63], v[74:75], -v[94:95]
	v_add_f64 v[74:75], v[88:89], v[86:87]
	ds_write_b128 v30, v[0:3]
	ds_write_b128 v30, v[26:29] offset:64
	ds_write_b128 v30, v[18:21] offset:128
	;; [unrolled: 1-line block ×6, first 2 shown]
	ds_write_b128 v31, v[4:7]
	ds_write_b128 v31, v[68:71] offset:64
	ds_write_b128 v31, v[64:67] offset:128
	;; [unrolled: 1-line block ×6, first 2 shown]
	s_waitcnt lgkmcnt(0)
	s_barrier
	buffer_gl0_inv
	s_clause 0x3
	global_load_dwordx4 v[4:7], v80, s[8:9] offset:416
	global_load_dwordx4 v[0:3], v80, s[8:9] offset:432
	;; [unrolled: 1-line block ×4, first 2 shown]
	v_lshrrev_b16 v10, 2, v34
	global_load_dwordx4 v[20:23], v80, s[8:9] offset:496
	v_mad_u32_u24 v109, 0xc40, v9, 0
	v_and_b32_e32 v10, 63, v10
	v_mul_lo_u16 v10, v10, 37
	v_lshrrev_b16 v11, 8, v10
	v_mul_lo_u16 v10, v11, 28
	v_and_b32_e32 v11, 0xffff, v11
	v_sub_nc_u16 v10, v34, v10
	v_mad_u32_u24 v110, 0xc40, v11, 0
	v_mul_u32_u24_sdwa v24, v10, v106 dst_sel:DWORD dst_unused:UNUSED_PAD src0_sel:BYTE_0 src1_sel:DWORD
	v_lshlrev_b32_e32 v68, 4, v24
	s_clause 0x6
	global_load_dwordx4 v[24:27], v68, s[8:9] offset:416
	global_load_dwordx4 v[28:31], v68, s[8:9] offset:432
	;; [unrolled: 1-line block ×7, first 2 shown]
	ds_read_b128 v[72:75], v50
	ds_read_b128 v[76:79], v51
	;; [unrolled: 1-line block ×5, first 2 shown]
	s_waitcnt vmcnt(11) lgkmcnt(4)
	v_mul_f64 v[92:93], v[74:75], v[6:7]
	v_mul_f64 v[6:7], v[72:73], v[6:7]
	s_waitcnt vmcnt(10) lgkmcnt(3)
	v_mul_f64 v[94:95], v[78:79], v[2:3]
	v_mul_f64 v[96:97], v[76:77], v[2:3]
	v_fma_f64 v[92:93], v[72:73], v[4:5], -v[92:93]
	v_fma_f64 v[98:99], v[74:75], v[4:5], v[6:7]
	ds_read_b128 v[2:5], v45
	s_waitcnt vmcnt(9) lgkmcnt(2)
	v_mul_f64 v[6:7], v[90:91], v[14:15]
	v_mul_f64 v[14:15], v[88:89], v[14:15]
	v_fma_f64 v[94:95], v[76:77], v[0:1], -v[94:95]
	v_fma_f64 v[96:97], v[78:79], v[0:1], v[96:97]
	ds_read_b128 v[72:75], v33 offset:15680
	ds_read_b128 v[76:79], v33 offset:17248
	v_fma_f64 v[88:89], v[88:89], v[12:13], -v[6:7]
	s_waitcnt vmcnt(8) lgkmcnt(1)
	v_mul_f64 v[0:1], v[74:75], v[18:19]
	v_mul_f64 v[6:7], v[72:73], v[18:19]
	v_fma_f64 v[90:91], v[90:91], v[12:13], v[14:15]
	ds_read_b128 v[12:15], v33 offset:18816
	v_fma_f64 v[72:73], v[72:73], v[16:17], -v[0:1]
	v_fma_f64 v[74:75], v[74:75], v[16:17], v[6:7]
	s_waitcnt vmcnt(7) lgkmcnt(0)
	v_mul_f64 v[0:1], v[14:15], v[22:23]
	v_mul_f64 v[6:7], v[12:13], v[22:23]
	s_waitcnt vmcnt(6)
	v_mul_f64 v[22:23], v[86:87], v[26:27]
	ds_read_b128 v[16:19], v33 offset:20384
	v_fma_f64 v[100:101], v[12:13], v[20:21], -v[0:1]
	v_fma_f64 v[20:21], v[14:15], v[20:21], v[6:7]
	v_mul_f64 v[0:1], v[84:85], v[26:27]
	s_waitcnt vmcnt(5)
	v_mul_f64 v[6:7], v[4:5], v[30:31]
	v_mul_f64 v[26:27], v[2:3], v[30:31]
	s_waitcnt vmcnt(4)
	v_mul_f64 v[30:31], v[78:79], v[54:55]
	v_mul_f64 v[54:55], v[76:77], v[54:55]
	ds_read_b128 v[12:15], v33 offset:12544
	v_fma_f64 v[22:23], v[84:85], v[24:25], -v[22:23]
	v_fma_f64 v[24:25], v[86:87], v[24:25], v[0:1]
	v_fma_f64 v[86:87], v[2:3], v[28:29], -v[6:7]
	v_fma_f64 v[26:27], v[4:5], v[28:29], v[26:27]
	ds_read_b128 v[4:7], v33 offset:10976
	ds_read_b128 v[0:3], v33 offset:14112
	s_waitcnt vmcnt(3) lgkmcnt(3)
	v_mul_f64 v[84:85], v[18:19], v[58:59]
	v_mul_f64 v[28:29], v[16:17], v[58:59]
	v_fma_f64 v[30:31], v[76:77], v[52:53], -v[30:31]
	v_fma_f64 v[52:53], v[78:79], v[52:53], v[54:55]
	s_waitcnt vmcnt(2) lgkmcnt(2)
	v_mul_f64 v[54:55], v[14:15], v[62:63]
	v_mul_f64 v[58:59], v[12:13], v[62:63]
	s_waitcnt vmcnt(0) lgkmcnt(0)
	v_mul_f64 v[76:77], v[2:3], v[70:71]
	v_fma_f64 v[62:63], v[16:17], v[56:57], -v[84:85]
	v_fma_f64 v[28:29], v[18:19], v[56:57], v[28:29]
	v_mul_f64 v[56:57], v[6:7], v[66:67]
	v_mul_f64 v[66:67], v[4:5], v[66:67]
	v_fma_f64 v[12:13], v[12:13], v[60:61], -v[54:55]
	v_mul_f64 v[54:55], v[0:1], v[70:71]
	v_fma_f64 v[14:15], v[14:15], v[60:61], v[58:59]
	v_add_f64 v[58:59], v[98:99], v[20:21]
	v_add_f64 v[60:61], v[96:97], v[74:75]
	;; [unrolled: 1-line block ×3, first 2 shown]
	v_add_f64 v[74:75], v[96:97], -v[74:75]
	v_add_f64 v[20:21], v[98:99], -v[20:21]
	;; [unrolled: 1-line block ×3, first 2 shown]
	ds_read_b128 v[16:19], v48
	s_waitcnt lgkmcnt(0)
	s_barrier
	buffer_gl0_inv
	v_fma_f64 v[0:1], v[0:1], v[68:69], -v[76:77]
	v_fma_f64 v[4:5], v[4:5], v[64:65], -v[56:57]
	v_add_f64 v[56:57], v[94:95], v[72:73]
	v_fma_f64 v[6:7], v[6:7], v[64:65], v[66:67]
	v_fma_f64 v[2:3], v[2:3], v[68:69], v[54:55]
	v_add_f64 v[54:55], v[92:93], v[100:101]
	v_add_f64 v[64:65], v[22:23], v[62:63]
	;; [unrolled: 1-line block ×4, first 2 shown]
	v_add_f64 v[72:73], v[94:95], -v[72:73]
	v_add_f64 v[76:77], v[12:13], -v[88:89]
	;; [unrolled: 1-line block ×3, first 2 shown]
	v_add_f64 v[12:13], v[88:89], v[12:13]
	v_add_f64 v[30:31], v[86:87], -v[30:31]
	v_add_f64 v[86:87], v[92:93], -v[100:101]
	v_add_f64 v[14:15], v[90:91], v[14:15]
	v_add_f64 v[90:91], v[60:61], v[58:59]
	v_add_f64 v[22:23], v[22:23], -v[62:63]
	v_add_f64 v[24:25], v[24:25], -v[28:29]
	;; [unrolled: 1-line block ×4, first 2 shown]
	v_add_f64 v[0:1], v[4:5], v[0:1]
	v_add_f64 v[88:89], v[6:7], v[2:3]
	;; [unrolled: 1-line block ×3, first 2 shown]
	v_add_f64 v[52:53], v[2:3], -v[6:7]
	v_add_f64 v[92:93], v[66:67], v[64:65]
	v_add_f64 v[94:95], v[70:71], v[68:69]
	v_add_f64 v[28:29], v[56:57], -v[54:55]
	v_add_f64 v[2:3], v[76:77], v[72:73]
	v_add_f64 v[6:7], v[78:79], v[74:75]
	v_add_f64 v[56:57], v[12:13], -v[56:57]
	v_add_f64 v[54:55], v[54:55], -v[12:13]
	;; [unrolled: 1-line block ×9, first 2 shown]
	v_add_f64 v[14:15], v[14:15], v[90:91]
	v_add_f64 v[76:77], v[86:87], -v[76:77]
	v_add_f64 v[62:63], v[84:85], v[30:31]
	v_add_f64 v[66:67], v[0:1], -v[66:67]
	v_add_f64 v[64:65], v[64:65], -v[0:1]
	;; [unrolled: 1-line block ×3, first 2 shown]
	v_add_f64 v[12:13], v[12:13], v[4:5]
	v_add_f64 v[104:105], v[52:53], v[26:27]
	;; [unrolled: 1-line block ×4, first 2 shown]
	v_add_f64 v[94:95], v[70:71], -v[68:69]
	v_add_f64 v[70:71], v[88:89], -v[70:71]
	v_add_f64 v[68:69], v[68:69], -v[88:89]
	v_add_f64 v[88:89], v[84:85], -v[30:31]
	v_add_f64 v[30:31], v[30:31], -v[22:23]
	v_mul_f64 v[96:97], v[96:97], s[14:15]
	v_mul_f64 v[106:107], v[72:73], s[6:7]
	v_add_f64 v[84:85], v[22:23], -v[84:85]
	v_add_f64 v[86:87], v[2:3], v[86:87]
	v_add_f64 v[20:21], v[6:7], v[20:21]
	v_mul_f64 v[54:55], v[54:55], s[16:17]
	v_mul_f64 v[58:59], v[58:59], s[16:17]
	v_add_f64 v[2:3], v[18:19], v[14:15]
	v_add_f64 v[18:19], v[52:53], -v[26:27]
	v_add_f64 v[22:23], v[62:63], v[22:23]
	v_mul_f64 v[62:63], v[100:101], s[14:15]
	v_add_f64 v[26:27], v[26:27], -v[24:25]
	v_add_f64 v[52:53], v[24:25], -v[52:53]
	v_add_f64 v[0:1], v[16:17], v[12:13]
	v_mul_f64 v[16:17], v[74:75], s[6:7]
	v_add_f64 v[4:5], v[80:81], v[90:91]
	v_add_f64 v[6:7], v[82:83], v[92:93]
	v_mul_f64 v[80:81], v[56:57], s[10:11]
	v_mul_f64 v[64:65], v[64:65], s[16:17]
	;; [unrolled: 1-line block ×4, first 2 shown]
	v_add_f64 v[24:25], v[104:105], v[24:25]
	v_fma_f64 v[72:73], v[72:73], s[6:7], -v[96:97]
	v_fma_f64 v[82:83], v[76:77], s[12:13], -v[106:107]
	v_fma_f64 v[76:77], v[76:77], s[4:5], v[96:97]
	v_mul_f64 v[96:97], v[60:61], s[10:11]
	v_mul_u32_u24_e32 v100, 6, v32
	v_mov_b32_e32 v106, 4
	v_fma_f64 v[14:15], v[14:15], s[24:25], v[2:3]
	v_mul_f64 v[18:19], v[18:19], s[14:15]
	v_lshlrev_b32_e32 v100, 4, v100
	v_fma_f64 v[74:75], v[74:75], s[6:7], -v[62:63]
	v_fma_f64 v[62:63], v[78:79], s[4:5], v[62:63]
	v_lshlrev_b32_sdwa v111, v106, v8 dst_sel:DWORD dst_unused:UNUSED_PAD src0_sel:DWORD src1_sel:BYTE_0
	v_fma_f64 v[12:13], v[12:13], s[24:25], v[0:1]
	v_fma_f64 v[16:17], v[78:79], s[12:13], -v[16:17]
	v_mul_f64 v[78:79], v[30:31], s[6:7]
	v_lshlrev_b32_sdwa v106, v106, v10 dst_sel:DWORD dst_unused:UNUSED_PAD src0_sel:DWORD src1_sel:BYTE_0
	v_fma_f64 v[80:81], v[28:29], s[20:21], -v[80:81]
	v_fma_f64 v[28:29], v[28:29], s[18:19], -v[54:55]
	v_fma_f64 v[54:55], v[56:57], s[10:11], v[54:55]
	v_mul_f64 v[56:57], v[26:27], s[6:7]
	v_fma_f64 v[30:31], v[30:31], s[6:7], -v[88:89]
	v_add_co_u32 v107, s0, s8, v100
	v_fma_f64 v[76:77], v[86:87], s[22:23], v[76:77]
	v_fma_f64 v[96:97], v[98:99], s[20:21], -v[96:97]
	v_fma_f64 v[98:99], v[98:99], s[18:19], -v[58:59]
	v_fma_f64 v[58:59], v[60:61], s[10:11], v[58:59]
	v_mul_f64 v[60:61], v[66:67], s[10:11]
	v_add_co_ci_u32_e64 v108, null, s9, 0, s0
	v_fma_f64 v[26:27], v[26:27], s[6:7], -v[18:19]
	v_fma_f64 v[18:19], v[52:53], s[4:5], v[18:19]
	v_fma_f64 v[62:63], v[20:21], s[22:23], v[62:63]
	;; [unrolled: 1-line block ×3, first 2 shown]
	v_add_co_u32 v100, s0, 0x800, v107
	v_fma_f64 v[78:79], v[84:85], s[12:13], -v[78:79]
	v_fma_f64 v[84:85], v[84:85], s[4:5], v[88:89]
	v_mul_f64 v[88:89], v[70:71], s[10:11]
	v_add_f64 v[80:81], v[80:81], v[12:13]
	v_add_co_ci_u32_e64 v101, s0, 0, v108, s0
	v_fma_f64 v[56:57], v[52:53], s[12:13], -v[56:57]
	v_fma_f64 v[52:53], v[102:103], s[20:21], -v[60:61]
	;; [unrolled: 1-line block ×3, first 2 shown]
	v_fma_f64 v[64:65], v[66:67], s[10:11], v[64:65]
	v_fma_f64 v[102:103], v[24:25], s[22:23], v[18:19]
	;; [unrolled: 1-line block ×4, first 2 shown]
	v_fma_f64 v[66:67], v[94:95], s[20:21], -v[88:89]
	v_fma_f64 v[88:89], v[90:91], s[24:25], v[4:5]
	v_fma_f64 v[90:91], v[92:93], s[24:25], v[6:7]
	v_fma_f64 v[92:93], v[94:95], s[18:19], -v[68:69]
	v_fma_f64 v[68:69], v[70:71], s[10:11], v[68:69]
	v_fma_f64 v[94:95], v[22:23], s[22:23], v[30:31]
	v_add_f64 v[30:31], v[54:55], v[12:13]
	v_add_f64 v[54:55], v[58:59], v[14:15]
	v_fma_f64 v[70:71], v[86:87], s[22:23], v[72:73]
	v_fma_f64 v[72:73], v[86:87], s[22:23], v[82:83]
	;; [unrolled: 1-line block ×3, first 2 shown]
	v_add_f64 v[20:21], v[28:29], v[12:13]
	v_add_f64 v[28:29], v[98:99], v[14:15]
	;; [unrolled: 1-line block ×3, first 2 shown]
	v_fma_f64 v[98:99], v[24:25], s[22:23], v[56:57]
	v_fma_f64 v[96:97], v[24:25], s[22:23], v[26:27]
	v_add_f64 v[8:9], v[80:81], -v[74:75]
	v_add_f64 v[12:13], v[74:75], v[80:81]
	v_add_f64 v[56:57], v[52:53], v[88:89]
	;; [unrolled: 1-line block ×8, first 2 shown]
	v_add_f64 v[26:27], v[54:55], -v[76:77]
	v_add_f64 v[16:17], v[86:87], v[20:21]
	v_add_f64 v[18:19], v[28:29], -v[72:73]
	v_add_f64 v[10:11], v[70:71], v[82:83]
	v_add_f64 v[14:15], v[82:83], -v[70:71]
	v_add_f64 v[20:21], v[20:21], -v[86:87]
	v_add_f64 v[22:23], v[72:73], v[28:29]
	v_add_f64 v[28:29], v[30:31], -v[62:63]
	v_add_f64 v[30:31], v[76:77], v[54:55]
	v_add_co_u32 v76, s0, 0xc20, v107
	v_add_co_ci_u32_e64 v77, s0, 0, v108, s0
	v_add_f64 v[52:53], v[56:57], -v[96:97]
	v_add_f64 v[54:55], v[94:95], v[58:59]
	v_add_f64 v[60:61], v[98:99], v[104:105]
	v_add_f64 v[62:63], v[92:93], -v[78:79]
	v_add_f64 v[64:65], v[102:103], v[88:89]
	v_add_f64 v[66:67], v[90:91], -v[84:85]
	;; [unrolled: 2-line block ×3, first 2 shown]
	v_add_f64 v[68:69], v[104:105], -v[98:99]
	v_add_f64 v[70:71], v[78:79], v[92:93]
	v_add_f64 v[72:73], v[88:89], -v[102:103]
	v_add_f64 v[74:75], v[84:85], v[90:91]
	v_add3_u32 v78, v109, v111, v41
	v_add3_u32 v41, v110, v106, v41
	ds_write_b128 v78, v[0:3]
	ds_write_b128 v78, v[24:27] offset:448
	ds_write_b128 v78, v[16:19] offset:896
	;; [unrolled: 1-line block ×6, first 2 shown]
	ds_write_b128 v41, v[4:7]
	ds_write_b128 v41, v[64:67] offset:448
	ds_write_b128 v41, v[60:63] offset:896
	;; [unrolled: 1-line block ×6, first 2 shown]
	s_waitcnt lgkmcnt(0)
	s_barrier
	buffer_gl0_inv
	s_clause 0x1
	global_load_dwordx4 v[3:6], v[100:101], off offset:1056
	global_load_dwordx4 v[7:10], v[76:77], off offset:16
	v_mov_b32_e32 v2, 0
	v_mul_i32_i24_e32 v1, 6, v34
	global_load_dwordx4 v[11:14], v[100:101], off offset:1120
	v_add_co_u32 v15, s0, 0xc60, v107
	v_add_co_ci_u32_e64 v16, s0, 0, v108, s0
	v_lshlrev_b64 v[0:1], 4, v[1:2]
	global_load_dwordx4 v[15:18], v[15:16], off offset:16
	v_add_co_u32 v31, s0, s8, v0
	v_add_co_ci_u32_e64 v41, s0, s9, v1, s0
	v_add_co_u32 v0, s0, 0x800, v31
	v_add_co_ci_u32_e64 v1, s0, 0, v41, s0
	;; [unrolled: 2-line block ×3, first 2 shown]
	s_clause 0x2
	global_load_dwordx4 v[19:22], v[0:1], off offset:1056
	global_load_dwordx4 v[23:26], v[68:69], off offset:16
	;; [unrolled: 1-line block ×3, first 2 shown]
	v_add_co_u32 v0, s0, 0xc60, v31
	v_add_co_ci_u32_e64 v1, s0, 0, v41, s0
	s_clause 0x4
	global_load_dwordx4 v[52:55], v[0:1], off offset:16
	global_load_dwordx4 v[56:59], v[76:77], off offset:32
	;; [unrolled: 1-line block ×5, first 2 shown]
	ds_read_b128 v[72:75], v50
	ds_read_b128 v[76:79], v51
	;; [unrolled: 1-line block ×4, first 2 shown]
	ds_read_b128 v[88:91], v33 offset:15680
	ds_read_b128 v[92:95], v33 offset:18816
	;; [unrolled: 1-line block ×3, first 2 shown]
	s_waitcnt vmcnt(11) lgkmcnt(6)
	v_mul_f64 v[0:1], v[74:75], v[5:6]
	v_mul_f64 v[5:6], v[72:73], v[5:6]
	s_waitcnt vmcnt(10) lgkmcnt(5)
	v_mul_f64 v[50:51], v[78:79], v[9:10]
	v_mul_f64 v[9:10], v[76:77], v[9:10]
	v_fma_f64 v[0:1], v[72:73], v[3:4], -v[0:1]
	v_fma_f64 v[72:73], v[74:75], v[3:4], v[5:6]
	s_waitcnt vmcnt(9) lgkmcnt(2)
	v_mul_f64 v[74:75], v[90:91], v[13:14]
	v_mul_f64 v[13:14], v[88:89], v[13:14]
	v_fma_f64 v[50:51], v[76:77], v[7:8], -v[50:51]
	v_fma_f64 v[76:77], v[78:79], v[7:8], v[9:10]
	ds_read_b128 v[7:10], v45
	s_waitcnt vmcnt(8) lgkmcnt(2)
	v_mul_f64 v[78:79], v[94:95], v[17:18]
	v_mul_f64 v[17:18], v[92:93], v[17:18]
	ds_read_b128 v[3:6], v33 offset:20384
	v_fma_f64 v[74:75], v[88:89], v[11:12], -v[74:75]
	v_fma_f64 v[88:89], v[90:91], v[11:12], v[13:14]
	ds_read_b128 v[11:14], v43
	s_waitcnt vmcnt(7)
	v_mul_f64 v[90:91], v[86:87], v[21:22]
	s_waitcnt vmcnt(6) lgkmcnt(2)
	v_mul_f64 v[100:101], v[9:10], v[25:26]
	v_mul_f64 v[25:26], v[7:8], v[25:26]
	;; [unrolled: 1-line block ×3, first 2 shown]
	v_fma_f64 v[78:79], v[92:93], v[15:16], -v[78:79]
	v_fma_f64 v[92:93], v[94:95], v[15:16], v[17:18]
	s_waitcnt vmcnt(5)
	v_mul_f64 v[94:95], v[98:99], v[29:30]
	v_mul_f64 v[29:30], v[96:97], v[29:30]
	ds_read_b128 v[15:18], v33 offset:12544
	v_fma_f64 v[84:85], v[84:85], v[19:20], -v[90:91]
	v_fma_f64 v[90:91], v[7:8], v[23:24], -v[100:101]
	v_fma_f64 v[23:24], v[9:10], v[23:24], v[25:26]
	ds_read_b128 v[7:10], v33 offset:14112
	s_waitcnt vmcnt(4) lgkmcnt(3)
	v_mul_f64 v[102:103], v[5:6], v[54:55]
	v_mul_f64 v[54:55], v[3:4], v[54:55]
	s_waitcnt vmcnt(3) lgkmcnt(2)
	v_mul_f64 v[25:26], v[13:14], v[58:59]
	v_fma_f64 v[86:87], v[86:87], v[19:20], v[21:22]
	ds_read_b128 v[19:22], v33 offset:10976
	v_fma_f64 v[94:95], v[96:97], v[27:28], -v[94:95]
	v_fma_f64 v[27:28], v[98:99], v[27:28], v[29:30]
	v_mul_f64 v[29:30], v[11:12], v[58:59]
	s_waitcnt vmcnt(2) lgkmcnt(2)
	v_mul_f64 v[58:59], v[17:18], v[62:63]
	v_mul_f64 v[62:63], v[15:16], v[62:63]
	s_waitcnt vmcnt(0) lgkmcnt(1)
	v_mul_f64 v[98:99], v[9:10], v[70:71]
	v_fma_f64 v[96:97], v[3:4], v[52:53], -v[102:103]
	v_fma_f64 v[52:53], v[5:6], v[52:53], v[54:55]
	s_waitcnt lgkmcnt(0)
	v_mul_f64 v[54:55], v[21:22], v[66:67]
	v_fma_f64 v[11:12], v[11:12], v[56:57], -v[25:26]
	v_mul_f64 v[25:26], v[7:8], v[70:71]
	v_mul_f64 v[66:67], v[19:20], v[66:67]
	ds_read_b128 v[3:6], v48
	v_fma_f64 v[13:14], v[13:14], v[56:57], v[29:30]
	v_fma_f64 v[15:16], v[15:16], v[60:61], -v[58:59]
	v_fma_f64 v[17:18], v[17:18], v[60:61], v[62:63]
	v_add_f64 v[29:30], v[50:51], v[74:75]
	v_add_f64 v[56:57], v[76:77], v[88:89]
	;; [unrolled: 1-line block ×3, first 2 shown]
	v_add_f64 v[50:51], v[50:51], -v[74:75]
	v_add_f64 v[74:75], v[90:91], -v[94:95]
	s_waitcnt lgkmcnt(0)
	s_barrier
	buffer_gl0_inv
	v_fma_f64 v[7:8], v[7:8], v[68:69], -v[98:99]
	v_add_f64 v[58:59], v[84:85], v[96:97]
	v_add_f64 v[62:63], v[86:87], v[52:53]
	v_fma_f64 v[19:20], v[19:20], v[64:65], -v[54:55]
	v_add_f64 v[54:55], v[72:73], v[92:93]
	v_fma_f64 v[9:10], v[9:10], v[68:69], v[25:26]
	v_add_f64 v[25:26], v[0:1], v[78:79]
	v_fma_f64 v[21:22], v[21:22], v[64:65], v[66:67]
	v_add_f64 v[64:65], v[23:24], v[27:28]
	v_add_f64 v[66:67], v[11:12], v[15:16]
	v_add_f64 v[11:12], v[15:16], -v[11:12]
	v_add_f64 v[0:1], v[0:1], -v[78:79]
	v_add_f64 v[68:69], v[13:14], v[17:18]
	v_add_f64 v[15:16], v[76:77], -v[88:89]
	v_add_f64 v[13:14], v[17:18], -v[13:14]
	;; [unrolled: 1-line block ×3, first 2 shown]
	v_add_f64 v[76:77], v[60:61], v[58:59]
	v_add_f64 v[100:101], v[60:61], -v[58:59]
	v_add_f64 v[70:71], v[19:20], v[7:8]
	v_add_f64 v[7:8], v[7:8], -v[19:20]
	v_add_f64 v[19:20], v[23:24], -v[27:28]
	v_add_f64 v[23:24], v[86:87], -v[52:53]
	v_add_f64 v[27:28], v[29:30], v[25:26]
	v_add_f64 v[52:53], v[56:57], v[54:55]
	;; [unrolled: 1-line block ×3, first 2 shown]
	v_add_f64 v[9:10], v[9:10], -v[21:22]
	v_add_f64 v[21:22], v[84:85], -v[96:97]
	v_add_f64 v[78:79], v[64:65], v[62:63]
	v_add_f64 v[88:89], v[11:12], v[50:51]
	v_add_f64 v[90:91], v[11:12], -v[50:51]
	v_add_f64 v[50:51], v[50:51], -v[0:1]
	;; [unrolled: 1-line block ×6, first 2 shown]
	v_add_f64 v[92:93], v[13:14], v[15:16]
	v_add_f64 v[94:95], v[13:14], -v[15:16]
	v_add_f64 v[15:16], v[15:16], -v[17:18]
	;; [unrolled: 1-line block ×5, first 2 shown]
	v_add_f64 v[96:97], v[7:8], v[74:75]
	v_add_f64 v[102:103], v[64:65], -v[62:63]
	v_add_f64 v[58:59], v[58:59], -v[70:71]
	v_add_f64 v[27:28], v[66:67], v[27:28]
	v_add_f64 v[52:53], v[68:69], v[52:53]
	v_add_f64 v[104:105], v[7:8], -v[74:75]
	v_add_f64 v[98:99], v[9:10], v[19:20]
	v_add_f64 v[66:67], v[9:10], -v[19:20]
	v_add_f64 v[74:75], v[74:75], -v[21:22]
	;; [unrolled: 1-line block ×3, first 2 shown]
	v_add_f64 v[68:69], v[70:71], v[76:77]
	v_add_f64 v[70:71], v[72:73], v[78:79]
	v_add_f64 v[11:12], v[0:1], -v[11:12]
	v_add_f64 v[19:20], v[19:20], -v[23:24]
	v_mul_f64 v[76:77], v[90:91], s[14:15]
	v_mul_f64 v[78:79], v[50:51], s[6:7]
	v_add_f64 v[64:65], v[72:73], -v[64:65]
	v_add_f64 v[13:14], v[17:18], -v[13:14]
	;; [unrolled: 1-line block ×3, first 2 shown]
	v_add_f64 v[0:1], v[88:89], v[0:1]
	v_add_f64 v[17:18], v[92:93], v[17:18]
	v_mul_f64 v[88:89], v[94:95], s[14:15]
	v_mul_f64 v[92:93], v[15:16], s[6:7]
	v_add_f64 v[21:22], v[96:97], v[21:22]
	v_mul_f64 v[94:95], v[29:30], s[10:11]
	v_mul_f64 v[25:26], v[25:26], s[16:17]
	;; [unrolled: 1-line block ×4, first 2 shown]
	v_add_f64 v[3:4], v[3:4], v[27:28]
	v_add_f64 v[5:6], v[5:6], v[52:53]
	v_add_f64 v[90:91], v[23:24], -v[9:10]
	v_add_f64 v[23:24], v[98:99], v[23:24]
	v_mul_f64 v[98:99], v[104:105], s[14:15]
	v_mul_f64 v[66:67], v[66:67], s[14:15]
	v_add_f64 v[7:8], v[80:81], v[68:69]
	v_add_f64 v[9:10], v[82:83], v[70:71]
	v_mul_f64 v[82:83], v[74:75], s[6:7]
	v_mul_f64 v[58:59], v[58:59], s[16:17]
	;; [unrolled: 1-line block ×3, first 2 shown]
	v_fma_f64 v[50:51], v[50:51], s[6:7], -v[76:77]
	v_fma_f64 v[78:79], v[11:12], s[12:13], -v[78:79]
	v_fma_f64 v[11:12], v[11:12], s[4:5], v[76:77]
	v_mul_f64 v[76:77], v[19:20], s[6:7]
	v_mul_f64 v[104:105], v[60:61], s[10:11]
	;; [unrolled: 1-line block ×3, first 2 shown]
	v_fma_f64 v[15:16], v[15:16], s[6:7], -v[88:89]
	v_fma_f64 v[92:93], v[13:14], s[12:13], -v[92:93]
	v_fma_f64 v[13:14], v[13:14], s[4:5], v[88:89]
	v_fma_f64 v[88:89], v[84:85], s[20:21], -v[94:95]
	v_fma_f64 v[84:85], v[84:85], s[18:19], -v[25:26]
	v_fma_f64 v[25:26], v[29:30], s[10:11], v[25:26]
	v_fma_f64 v[29:30], v[86:87], s[20:21], -v[96:97]
	v_fma_f64 v[27:28], v[27:28], s[24:25], v[3:4]
	v_fma_f64 v[52:53], v[52:53], s[24:25], v[5:6]
	v_fma_f64 v[86:87], v[86:87], s[18:19], -v[54:55]
	v_fma_f64 v[54:55], v[56:57], s[10:11], v[54:55]
	v_fma_f64 v[19:20], v[19:20], s[6:7], -v[66:67]
	;; [unrolled: 2-line block ×3, first 2 shown]
	v_fma_f64 v[94:95], v[100:101], s[18:19], -v[58:59]
	v_fma_f64 v[70:71], v[70:71], s[24:25], v[9:10]
	v_fma_f64 v[72:73], v[72:73], s[4:5], v[98:99]
	;; [unrolled: 1-line block ×5, first 2 shown]
	v_fma_f64 v[76:77], v[90:91], s[12:13], -v[76:77]
	v_fma_f64 v[96:97], v[102:103], s[18:19], -v[62:63]
	;; [unrolled: 1-line block ×5, first 2 shown]
	v_fma_f64 v[50:51], v[0:1], s[22:23], v[50:51]
	v_fma_f64 v[62:63], v[0:1], s[22:23], v[78:79]
	;; [unrolled: 1-line block ×4, first 2 shown]
	v_add_f64 v[78:79], v[88:89], v[27:28]
	v_add_f64 v[29:30], v[29:30], v[52:53]
	v_fma_f64 v[88:89], v[17:18], s[22:23], v[13:14]
	v_add_f64 v[86:87], v[86:87], v[52:53]
	v_add_f64 v[92:93], v[25:26], v[27:28]
	;; [unrolled: 1-line block ×4, first 2 shown]
	v_fma_f64 v[15:16], v[17:18], s[22:23], v[15:16]
	v_fma_f64 v[82:83], v[21:22], s[22:23], v[82:83]
	;; [unrolled: 1-line block ×4, first 2 shown]
	v_add_f64 v[72:73], v[94:95], v[68:69]
	v_add_f64 v[94:95], v[58:59], v[68:69]
	;; [unrolled: 1-line block ×3, first 2 shown]
	v_fma_f64 v[76:77], v[23:24], s[22:23], v[76:77]
	v_add_f64 v[96:97], v[96:97], v[70:71]
	v_fma_f64 v[90:91], v[23:24], s[22:23], v[19:20]
	v_fma_f64 v[74:75], v[21:22], s[22:23], v[74:75]
	v_add_f64 v[98:99], v[56:57], v[68:69]
	v_add_f64 v[80:81], v[80:81], v[70:71]
	s_addc_u32 s4, s9, 0
	s_mov_b32 s5, exec_lo
	v_add_f64 v[13:14], v[50:51], v[29:30]
	v_add_f64 v[17:18], v[29:30], -v[50:51]
	v_add_f64 v[21:22], v[86:87], -v[62:63]
	v_add_f64 v[27:28], v[88:89], v[92:93]
	v_add_f64 v[29:30], v[52:53], -v[0:1]
	v_add_f64 v[19:20], v[64:65], v[84:85]
	;; [unrolled: 2-line block ×5, first 2 shown]
	v_add_f64 v[66:67], v[102:103], v[94:95]
	v_add_f64 v[68:69], v[104:105], -v[100:101]
	v_add_f64 v[62:63], v[76:77], v[72:73]
	v_add_f64 v[64:65], v[96:97], -v[82:83]
	v_add_f64 v[70:71], v[72:73], -v[76:77]
	;; [unrolled: 1-line block ×3, first 2 shown]
	v_add_f64 v[56:57], v[74:75], v[80:81]
	v_add_f64 v[58:59], v[90:91], v[98:99]
	v_add_f64 v[60:61], v[80:81], -v[74:75]
	v_add_f64 v[72:73], v[82:83], v[96:97]
	v_add_f64 v[74:75], v[94:95], -v[102:103]
	v_add_f64 v[76:77], v[100:101], v[104:105]
	ds_write_b128 v33, v[3:6]
	ds_write_b128 v33, v[27:30] offset:3136
	ds_write_b128 v33, v[19:22] offset:6272
	;; [unrolled: 1-line block ×6, first 2 shown]
	ds_write_b128 v39, v[7:10]
	ds_write_b128 v39, v[66:69] offset:3136
	ds_write_b128 v39, v[62:65] offset:6272
	;; [unrolled: 1-line block ×6, first 2 shown]
	s_waitcnt lgkmcnt(0)
	s_barrier
	buffer_gl0_inv
	ds_read_b128 v[4:7], v48
	v_sub_nc_u32_e32 v12, v49, v35
                                        ; implicit-def: $vgpr0_vgpr1
                                        ; implicit-def: $vgpr8_vgpr9
                                        ; implicit-def: $vgpr10_vgpr11
	v_cmpx_ne_u32_e32 0, v32
	s_xor_b32 s5, exec_lo, s5
	s_cbranch_execz .LBB0_15
; %bb.14:
	v_mov_b32_e32 v33, v2
	v_lshlrev_b64 v[0:1], 4, v[32:33]
	v_add_co_u32 v0, s0, s1, v0
	v_add_co_ci_u32_e64 v1, s0, s4, v1, s0
	global_load_dwordx4 v[13:16], v[0:1], off
	ds_read_b128 v[0:3], v12 offset:21952
	s_waitcnt lgkmcnt(0)
	v_add_f64 v[8:9], v[4:5], -v[0:1]
	v_add_f64 v[10:11], v[6:7], v[2:3]
	v_add_f64 v[2:3], v[6:7], -v[2:3]
	v_add_f64 v[0:1], v[4:5], v[0:1]
	v_mul_f64 v[6:7], v[8:9], 0.5
	v_mul_f64 v[4:5], v[10:11], 0.5
	;; [unrolled: 1-line block ×3, first 2 shown]
	s_waitcnt vmcnt(0)
	v_mul_f64 v[8:9], v[6:7], v[15:16]
	v_fma_f64 v[10:11], v[4:5], v[15:16], v[2:3]
	v_fma_f64 v[2:3], v[4:5], v[15:16], -v[2:3]
	v_fma_f64 v[17:18], v[0:1], 0.5, v[8:9]
	v_fma_f64 v[0:1], v[0:1], 0.5, -v[8:9]
	v_fma_f64 v[10:11], -v[13:14], v[6:7], v[10:11]
	v_fma_f64 v[2:3], -v[13:14], v[6:7], v[2:3]
	v_fma_f64 v[8:9], v[4:5], v[13:14], v[17:18]
	v_fma_f64 v[0:1], -v[4:5], v[13:14], v[0:1]
                                        ; implicit-def: $vgpr4_vgpr5
.LBB0_15:
	s_andn2_saveexec_b32 s0, s5
	s_cbranch_execz .LBB0_17
; %bb.16:
	ds_read_b64 v[13:14], v49 offset:10984
	s_waitcnt lgkmcnt(1)
	v_add_f64 v[8:9], v[4:5], v[6:7]
	v_add_f64 v[0:1], v[4:5], -v[6:7]
	v_mov_b32_e32 v10, 0
	v_mov_b32_e32 v11, 0
	;; [unrolled: 1-line block ×4, first 2 shown]
	s_waitcnt lgkmcnt(0)
	v_xor_b32_e32 v14, 0x80000000, v14
	ds_write_b64 v49, v[13:14] offset:10984
.LBB0_17:
	s_or_b32 exec_lo, exec_lo, s0
	v_mov_b32_e32 v35, 0
	v_lshl_add_u32 v25, v34, 4, v49
	ds_write2_b64 v48, v[8:9], v[10:11] offset1:1
	ds_write_b128 v12, v[0:3] offset:21952
	v_lshl_add_u32 v26, v46, 4, v49
	s_waitcnt lgkmcnt(2)
	v_lshlrev_b64 v[4:5], 4, v[34:35]
	v_mov_b32_e32 v47, v35
	v_mov_b32_e32 v45, v35
	;; [unrolled: 1-line block ×5, first 2 shown]
	v_add_co_u32 v4, s0, s1, v4
	v_add_co_ci_u32_e64 v5, s0, s4, v5, s0
	v_lshlrev_b64 v[13:14], 4, v[46:47]
	v_lshlrev_b64 v[17:18], 4, v[44:45]
	global_load_dwordx4 v[4:7], v[4:5], off
	v_add_co_u32 v13, s0, s1, v13
	v_add_co_ci_u32_e64 v14, s0, s4, v14, s0
	v_add_co_u32 v17, s0, s1, v17
	v_add_co_ci_u32_e64 v18, s0, s4, v18, s0
	global_load_dwordx4 v[13:16], v[13:14], off
	ds_read_b128 v[0:3], v25
	ds_read_b128 v[8:11], v12 offset:20384
	global_load_dwordx4 v[17:20], v[17:18], off
	s_waitcnt lgkmcnt(0)
	v_add_f64 v[21:22], v[0:1], -v[8:9]
	v_add_f64 v[23:24], v[2:3], v[10:11]
	v_add_f64 v[2:3], v[2:3], -v[10:11]
	v_add_f64 v[0:1], v[0:1], v[8:9]
	v_mul_f64 v[10:11], v[21:22], 0.5
	v_mul_f64 v[21:22], v[23:24], 0.5
	;; [unrolled: 1-line block ×3, first 2 shown]
	s_waitcnt vmcnt(2)
	v_mul_f64 v[8:9], v[10:11], v[6:7]
	v_fma_f64 v[23:24], v[21:22], v[6:7], v[2:3]
	v_fma_f64 v[2:3], v[21:22], v[6:7], -v[2:3]
	v_fma_f64 v[6:7], v[0:1], 0.5, v[8:9]
	v_fma_f64 v[0:1], v[0:1], 0.5, -v[8:9]
	v_fma_f64 v[8:9], -v[4:5], v[10:11], v[23:24]
	v_fma_f64 v[2:3], -v[4:5], v[10:11], v[2:3]
	v_lshlrev_b64 v[10:11], 4, v[42:43]
	v_fma_f64 v[6:7], v[21:22], v[4:5], v[6:7]
	v_fma_f64 v[0:1], -v[21:22], v[4:5], v[0:1]
	ds_write2_b64 v25, v[6:7], v[8:9] offset1:1
	ds_write_b128 v12, v[0:3] offset:20384
	v_add_co_u32 v8, s0, s1, v10
	ds_read_b128 v[0:3], v26
	ds_read_b128 v[4:7], v12 offset:18816
	v_add_co_ci_u32_e64 v9, s0, s4, v11, s0
	v_lshl_add_u32 v25, v44, 4, v49
	global_load_dwordx4 v[8:11], v[8:9], off
	s_waitcnt lgkmcnt(0)
	v_add_f64 v[21:22], v[0:1], -v[4:5]
	v_add_f64 v[23:24], v[2:3], v[6:7]
	v_add_f64 v[2:3], v[2:3], -v[6:7]
	v_add_f64 v[0:1], v[0:1], v[4:5]
	v_mul_f64 v[6:7], v[21:22], 0.5
	v_mul_f64 v[21:22], v[23:24], 0.5
	;; [unrolled: 1-line block ×3, first 2 shown]
	s_waitcnt vmcnt(2)
	v_mul_f64 v[4:5], v[6:7], v[15:16]
	v_fma_f64 v[23:24], v[21:22], v[15:16], v[2:3]
	v_fma_f64 v[2:3], v[21:22], v[15:16], -v[2:3]
	v_fma_f64 v[15:16], v[0:1], 0.5, v[4:5]
	v_fma_f64 v[0:1], v[0:1], 0.5, -v[4:5]
	v_fma_f64 v[4:5], -v[13:14], v[6:7], v[23:24]
	v_fma_f64 v[2:3], -v[13:14], v[6:7], v[2:3]
	v_fma_f64 v[6:7], v[21:22], v[13:14], v[15:16]
	v_fma_f64 v[0:1], -v[21:22], v[13:14], v[0:1]
	v_lshlrev_b64 v[13:14], 4, v[40:41]
	ds_write2_b64 v26, v[6:7], v[4:5] offset1:1
	ds_write_b128 v12, v[0:3] offset:18816
	v_add_co_u32 v13, s0, s1, v13
	ds_read_b128 v[0:3], v25
	ds_read_b128 v[4:7], v12 offset:17248
	v_add_co_ci_u32_e64 v14, s0, s4, v14, s0
	v_lshl_add_u32 v26, v42, 4, v49
	global_load_dwordx4 v[13:16], v[13:14], off
	s_waitcnt lgkmcnt(0)
	v_add_f64 v[21:22], v[0:1], -v[4:5]
	v_add_f64 v[23:24], v[2:3], v[6:7]
	v_add_f64 v[2:3], v[2:3], -v[6:7]
	v_add_f64 v[0:1], v[0:1], v[4:5]
	v_mul_f64 v[6:7], v[21:22], 0.5
	v_mul_f64 v[21:22], v[23:24], 0.5
	;; [unrolled: 1-line block ×3, first 2 shown]
	s_waitcnt vmcnt(2)
	v_mul_f64 v[4:5], v[6:7], v[19:20]
	v_fma_f64 v[23:24], v[21:22], v[19:20], v[2:3]
	v_fma_f64 v[2:3], v[21:22], v[19:20], -v[2:3]
	v_fma_f64 v[19:20], v[0:1], 0.5, v[4:5]
	v_fma_f64 v[0:1], v[0:1], 0.5, -v[4:5]
	v_fma_f64 v[4:5], -v[17:18], v[6:7], v[23:24]
	v_fma_f64 v[2:3], -v[17:18], v[6:7], v[2:3]
	v_fma_f64 v[6:7], v[21:22], v[17:18], v[19:20]
	v_fma_f64 v[0:1], -v[21:22], v[17:18], v[0:1]
	v_lshlrev_b64 v[17:18], 4, v[38:39]
	ds_write2_b64 v25, v[6:7], v[4:5] offset1:1
	ds_write_b128 v12, v[0:3] offset:17248
	v_add_co_u32 v17, s0, s1, v17
	ds_read_b128 v[0:3], v26
	ds_read_b128 v[4:7], v12 offset:15680
	v_add_co_ci_u32_e64 v18, s0, s4, v18, s0
	global_load_dwordx4 v[17:20], v[17:18], off
	s_waitcnt lgkmcnt(0)
	v_add_f64 v[21:22], v[0:1], -v[4:5]
	v_add_f64 v[23:24], v[2:3], v[6:7]
	v_add_f64 v[2:3], v[2:3], -v[6:7]
	v_add_f64 v[0:1], v[0:1], v[4:5]
	v_mul_f64 v[6:7], v[21:22], 0.5
	v_mul_f64 v[21:22], v[23:24], 0.5
	;; [unrolled: 1-line block ×3, first 2 shown]
	s_waitcnt vmcnt(2)
	v_mul_f64 v[4:5], v[6:7], v[10:11]
	v_fma_f64 v[23:24], v[21:22], v[10:11], v[2:3]
	v_fma_f64 v[2:3], v[21:22], v[10:11], -v[2:3]
	v_fma_f64 v[10:11], v[0:1], 0.5, v[4:5]
	v_fma_f64 v[0:1], v[0:1], 0.5, -v[4:5]
	v_fma_f64 v[4:5], -v[8:9], v[6:7], v[23:24]
	v_fma_f64 v[2:3], -v[8:9], v[6:7], v[2:3]
	v_fma_f64 v[6:7], v[21:22], v[8:9], v[10:11]
	v_fma_f64 v[0:1], -v[21:22], v[8:9], v[0:1]
	v_lshl_add_u32 v21, v40, 4, v49
	ds_write2_b64 v26, v[6:7], v[4:5] offset1:1
	ds_write_b128 v12, v[0:3] offset:15680
	ds_read_b128 v[0:3], v21
	ds_read_b128 v[4:7], v12 offset:14112
	s_waitcnt lgkmcnt(0)
	v_add_f64 v[8:9], v[0:1], -v[4:5]
	v_add_f64 v[10:11], v[2:3], v[6:7]
	v_add_f64 v[2:3], v[2:3], -v[6:7]
	v_add_f64 v[0:1], v[0:1], v[4:5]
	v_mul_f64 v[6:7], v[8:9], 0.5
	v_mul_f64 v[8:9], v[10:11], 0.5
	;; [unrolled: 1-line block ×3, first 2 shown]
	s_waitcnt vmcnt(1)
	v_mul_f64 v[4:5], v[6:7], v[15:16]
	v_fma_f64 v[10:11], v[8:9], v[15:16], v[2:3]
	v_fma_f64 v[2:3], v[8:9], v[15:16], -v[2:3]
	v_fma_f64 v[15:16], v[0:1], 0.5, v[4:5]
	v_fma_f64 v[0:1], v[0:1], 0.5, -v[4:5]
	v_fma_f64 v[4:5], -v[13:14], v[6:7], v[10:11]
	v_fma_f64 v[2:3], -v[13:14], v[6:7], v[2:3]
	v_fma_f64 v[6:7], v[8:9], v[13:14], v[15:16]
	v_fma_f64 v[0:1], -v[8:9], v[13:14], v[0:1]
	v_lshl_add_u32 v15, v38, 4, v49
	ds_write2_b64 v21, v[6:7], v[4:5] offset1:1
	ds_write_b128 v12, v[0:3] offset:14112
	ds_read_b128 v[0:3], v15
	ds_read_b128 v[4:7], v12 offset:12544
	s_waitcnt lgkmcnt(0)
	v_add_f64 v[8:9], v[0:1], -v[4:5]
	v_add_f64 v[10:11], v[2:3], v[6:7]
	v_add_f64 v[2:3], v[2:3], -v[6:7]
	v_add_f64 v[0:1], v[0:1], v[4:5]
	v_mul_f64 v[6:7], v[8:9], 0.5
	v_mul_f64 v[8:9], v[10:11], 0.5
	v_mul_f64 v[2:3], v[2:3], 0.5
	s_waitcnt vmcnt(0)
	v_mul_f64 v[4:5], v[6:7], v[19:20]
	v_fma_f64 v[10:11], v[8:9], v[19:20], v[2:3]
	v_fma_f64 v[2:3], v[8:9], v[19:20], -v[2:3]
	v_fma_f64 v[13:14], v[0:1], 0.5, v[4:5]
	v_fma_f64 v[0:1], v[0:1], 0.5, -v[4:5]
	v_fma_f64 v[4:5], -v[17:18], v[6:7], v[10:11]
	v_fma_f64 v[2:3], -v[17:18], v[6:7], v[2:3]
	v_fma_f64 v[6:7], v[8:9], v[17:18], v[13:14]
	v_fma_f64 v[0:1], -v[8:9], v[17:18], v[0:1]
	ds_write2_b64 v15, v[6:7], v[4:5] offset1:1
	ds_write_b128 v12, v[0:3] offset:12544
	s_waitcnt lgkmcnt(0)
	s_barrier
	buffer_gl0_inv
	s_and_saveexec_b32 s0, vcc_lo
	s_cbranch_execz .LBB0_20
; %bb.18:
	v_mov_b32_e32 v33, v35
	ds_read_b128 v[2:5], v48
	ds_read_b128 v[6:9], v48 offset:1568
	v_add_co_u32 v0, vcc_lo, s2, v36
	v_add_co_ci_u32_e32 v1, vcc_lo, s3, v37, vcc_lo
	v_lshlrev_b64 v[10:11], 4, v[32:33]
	v_add_co_u32 v30, vcc_lo, v0, v10
	v_add_co_ci_u32_e32 v31, vcc_lo, v1, v11, vcc_lo
	ds_read_b128 v[10:13], v48 offset:3136
	ds_read_b128 v[14:17], v48 offset:4704
	;; [unrolled: 1-line block ×5, first 2 shown]
	v_add_co_u32 v33, vcc_lo, 0x800, v30
	v_add_co_ci_u32_e32 v34, vcc_lo, 0, v31, vcc_lo
	s_waitcnt lgkmcnt(6)
	global_store_dwordx4 v[30:31], v[2:5], off
	s_waitcnt lgkmcnt(5)
	global_store_dwordx4 v[30:31], v[6:9], off offset:1568
	ds_read_b128 v[2:5], v48 offset:10976
	ds_read_b128 v[6:9], v48 offset:12544
	v_add_co_u32 v35, vcc_lo, 0x1000, v30
	v_add_co_ci_u32_e32 v36, vcc_lo, 0, v31, vcc_lo
	v_add_co_u32 v37, vcc_lo, 0x1800, v30
	v_add_co_ci_u32_e32 v38, vcc_lo, 0, v31, vcc_lo
	;; [unrolled: 2-line block ×3, first 2 shown]
	s_waitcnt lgkmcnt(6)
	global_store_dwordx4 v[33:34], v[10:13], off offset:1088
	s_waitcnt lgkmcnt(5)
	global_store_dwordx4 v[35:36], v[14:17], off offset:608
	;; [unrolled: 2-line block ×5, first 2 shown]
	v_add_co_u32 v33, vcc_lo, 0x2800, v30
	v_add_co_ci_u32_e32 v34, vcc_lo, 0, v31, vcc_lo
	ds_read_b128 v[10:13], v48 offset:14112
	v_add_co_u32 v35, vcc_lo, 0x3000, v30
	ds_read_b128 v[14:17], v48 offset:15680
	ds_read_b128 v[18:21], v48 offset:17248
	;; [unrolled: 1-line block ×4, first 2 shown]
	v_add_co_ci_u32_e32 v36, vcc_lo, 0, v31, vcc_lo
	s_waitcnt lgkmcnt(6)
	global_store_dwordx4 v[33:34], v[2:5], off offset:736
	s_waitcnt lgkmcnt(5)
	global_store_dwordx4 v[35:36], v[6:9], off offset:256
	v_add_co_u32 v2, vcc_lo, 0x3800, v30
	v_add_co_ci_u32_e32 v3, vcc_lo, 0, v31, vcc_lo
	v_add_co_u32 v4, vcc_lo, 0x4000, v30
	v_add_co_ci_u32_e32 v5, vcc_lo, 0, v31, vcc_lo
	;; [unrolled: 2-line block ×3, first 2 shown]
	v_cmp_eq_u32_e32 vcc_lo, 0x61, v32
	s_waitcnt lgkmcnt(4)
	global_store_dwordx4 v[35:36], v[10:13], off offset:1824
	s_waitcnt lgkmcnt(3)
	global_store_dwordx4 v[2:3], v[14:17], off offset:1344
	;; [unrolled: 2-line block ×5, first 2 shown]
	s_and_b32 exec_lo, exec_lo, vcc_lo
	s_cbranch_execz .LBB0_20
; %bb.19:
	ds_read_b128 v[2:5], v48 offset:20400
	v_add_co_u32 v0, vcc_lo, 0x5000, v0
	v_add_co_ci_u32_e32 v1, vcc_lo, 0, v1, vcc_lo
	s_waitcnt lgkmcnt(0)
	global_store_dwordx4 v[0:1], v[2:5], off offset:1472
.LBB0_20:
	s_endpgm
	.section	.rodata,"a",@progbits
	.p2align	6, 0x0
	.amdhsa_kernel fft_rtc_fwd_len1372_factors_2_2_7_7_7_wgs_196_tpt_98_halfLds_dp_ip_CI_unitstride_sbrr_R2C_dirReg
		.amdhsa_group_segment_fixed_size 0
		.amdhsa_private_segment_fixed_size 0
		.amdhsa_kernarg_size 88
		.amdhsa_user_sgpr_count 6
		.amdhsa_user_sgpr_private_segment_buffer 1
		.amdhsa_user_sgpr_dispatch_ptr 0
		.amdhsa_user_sgpr_queue_ptr 0
		.amdhsa_user_sgpr_kernarg_segment_ptr 1
		.amdhsa_user_sgpr_dispatch_id 0
		.amdhsa_user_sgpr_flat_scratch_init 0
		.amdhsa_user_sgpr_private_segment_size 0
		.amdhsa_wavefront_size32 1
		.amdhsa_uses_dynamic_stack 0
		.amdhsa_system_sgpr_private_segment_wavefront_offset 0
		.amdhsa_system_sgpr_workgroup_id_x 1
		.amdhsa_system_sgpr_workgroup_id_y 0
		.amdhsa_system_sgpr_workgroup_id_z 0
		.amdhsa_system_sgpr_workgroup_info 0
		.amdhsa_system_vgpr_workitem_id 0
		.amdhsa_next_free_vgpr 112
		.amdhsa_next_free_sgpr 26
		.amdhsa_reserve_vcc 1
		.amdhsa_reserve_flat_scratch 0
		.amdhsa_float_round_mode_32 0
		.amdhsa_float_round_mode_16_64 0
		.amdhsa_float_denorm_mode_32 3
		.amdhsa_float_denorm_mode_16_64 3
		.amdhsa_dx10_clamp 1
		.amdhsa_ieee_mode 1
		.amdhsa_fp16_overflow 0
		.amdhsa_workgroup_processor_mode 1
		.amdhsa_memory_ordered 1
		.amdhsa_forward_progress 0
		.amdhsa_shared_vgpr_count 0
		.amdhsa_exception_fp_ieee_invalid_op 0
		.amdhsa_exception_fp_denorm_src 0
		.amdhsa_exception_fp_ieee_div_zero 0
		.amdhsa_exception_fp_ieee_overflow 0
		.amdhsa_exception_fp_ieee_underflow 0
		.amdhsa_exception_fp_ieee_inexact 0
		.amdhsa_exception_int_div_zero 0
	.end_amdhsa_kernel
	.text
.Lfunc_end0:
	.size	fft_rtc_fwd_len1372_factors_2_2_7_7_7_wgs_196_tpt_98_halfLds_dp_ip_CI_unitstride_sbrr_R2C_dirReg, .Lfunc_end0-fft_rtc_fwd_len1372_factors_2_2_7_7_7_wgs_196_tpt_98_halfLds_dp_ip_CI_unitstride_sbrr_R2C_dirReg
                                        ; -- End function
	.section	.AMDGPU.csdata,"",@progbits
; Kernel info:
; codeLenInByte = 12324
; NumSgprs: 28
; NumVgprs: 112
; ScratchSize: 0
; MemoryBound: 0
; FloatMode: 240
; IeeeMode: 1
; LDSByteSize: 0 bytes/workgroup (compile time only)
; SGPRBlocks: 3
; VGPRBlocks: 13
; NumSGPRsForWavesPerEU: 28
; NumVGPRsForWavesPerEU: 112
; Occupancy: 9
; WaveLimiterHint : 1
; COMPUTE_PGM_RSRC2:SCRATCH_EN: 0
; COMPUTE_PGM_RSRC2:USER_SGPR: 6
; COMPUTE_PGM_RSRC2:TRAP_HANDLER: 0
; COMPUTE_PGM_RSRC2:TGID_X_EN: 1
; COMPUTE_PGM_RSRC2:TGID_Y_EN: 0
; COMPUTE_PGM_RSRC2:TGID_Z_EN: 0
; COMPUTE_PGM_RSRC2:TIDIG_COMP_CNT: 0
	.text
	.p2alignl 6, 3214868480
	.fill 48, 4, 3214868480
	.type	__hip_cuid_6d13786fba07e366,@object ; @__hip_cuid_6d13786fba07e366
	.section	.bss,"aw",@nobits
	.globl	__hip_cuid_6d13786fba07e366
__hip_cuid_6d13786fba07e366:
	.byte	0                               ; 0x0
	.size	__hip_cuid_6d13786fba07e366, 1

	.ident	"AMD clang version 19.0.0git (https://github.com/RadeonOpenCompute/llvm-project roc-6.4.0 25133 c7fe45cf4b819c5991fe208aaa96edf142730f1d)"
	.section	".note.GNU-stack","",@progbits
	.addrsig
	.addrsig_sym __hip_cuid_6d13786fba07e366
	.amdgpu_metadata
---
amdhsa.kernels:
  - .args:
      - .actual_access:  read_only
        .address_space:  global
        .offset:         0
        .size:           8
        .value_kind:     global_buffer
      - .offset:         8
        .size:           8
        .value_kind:     by_value
      - .actual_access:  read_only
        .address_space:  global
        .offset:         16
        .size:           8
        .value_kind:     global_buffer
      - .actual_access:  read_only
        .address_space:  global
        .offset:         24
        .size:           8
        .value_kind:     global_buffer
      - .offset:         32
        .size:           8
        .value_kind:     by_value
      - .actual_access:  read_only
        .address_space:  global
        .offset:         40
        .size:           8
        .value_kind:     global_buffer
      - .actual_access:  read_only
        .address_space:  global
        .offset:         48
        .size:           8
        .value_kind:     global_buffer
      - .offset:         56
        .size:           4
        .value_kind:     by_value
      - .actual_access:  read_only
        .address_space:  global
        .offset:         64
        .size:           8
        .value_kind:     global_buffer
      - .actual_access:  read_only
        .address_space:  global
        .offset:         72
        .size:           8
        .value_kind:     global_buffer
      - .address_space:  global
        .offset:         80
        .size:           8
        .value_kind:     global_buffer
    .group_segment_fixed_size: 0
    .kernarg_segment_align: 8
    .kernarg_segment_size: 88
    .language:       OpenCL C
    .language_version:
      - 2
      - 0
    .max_flat_workgroup_size: 196
    .name:           fft_rtc_fwd_len1372_factors_2_2_7_7_7_wgs_196_tpt_98_halfLds_dp_ip_CI_unitstride_sbrr_R2C_dirReg
    .private_segment_fixed_size: 0
    .sgpr_count:     28
    .sgpr_spill_count: 0
    .symbol:         fft_rtc_fwd_len1372_factors_2_2_7_7_7_wgs_196_tpt_98_halfLds_dp_ip_CI_unitstride_sbrr_R2C_dirReg.kd
    .uniform_work_group_size: 1
    .uses_dynamic_stack: false
    .vgpr_count:     112
    .vgpr_spill_count: 0
    .wavefront_size: 32
    .workgroup_processor_mode: 1
amdhsa.target:   amdgcn-amd-amdhsa--gfx1030
amdhsa.version:
  - 1
  - 2
...

	.end_amdgpu_metadata
